;; amdgpu-corpus repo=ROCm/rocFFT kind=compiled arch=gfx950 opt=O3
	.text
	.amdgcn_target "amdgcn-amd-amdhsa--gfx950"
	.amdhsa_code_object_version 6
	.protected	bluestein_single_fwd_len945_dim1_dp_op_CI_CI ; -- Begin function bluestein_single_fwd_len945_dim1_dp_op_CI_CI
	.globl	bluestein_single_fwd_len945_dim1_dp_op_CI_CI
	.p2align	8
	.type	bluestein_single_fwd_len945_dim1_dp_op_CI_CI,@function
bluestein_single_fwd_len945_dim1_dp_op_CI_CI: ; @bluestein_single_fwd_len945_dim1_dp_op_CI_CI
; %bb.0:
	s_load_dwordx4 s[4:7], s[0:1], 0x28
	v_mul_u32_u24_e32 v1, 0x411, v0
	v_add_u32_sdwa v122, s2, v1 dst_sel:DWORD dst_unused:UNUSED_PAD src0_sel:DWORD src1_sel:WORD_1
	v_mov_b32_e32 v123, 0
	s_waitcnt lgkmcnt(0)
	v_cmp_gt_u64_e32 vcc, s[4:5], v[122:123]
	s_and_saveexec_b64 s[2:3], vcc
	s_cbranch_execz .LBB0_10
; %bb.1:
	s_load_dwordx4 s[8:11], s[0:1], 0x0
	s_load_dwordx4 s[16:19], s[0:1], 0x18
	s_load_dwordx2 s[12:13], s[0:1], 0x38
	s_mov_b32 s0, 0
	v_mov_b32_e32 v2, s6
	v_mov_b32_e32 v3, s7
	;; [unrolled: 1-line block ×3, first 2 shown]
	s_waitcnt lgkmcnt(0)
	s_load_dwordx4 s[4:7], s[18:19], 0x0
	s_load_dwordx4 s[0:3], s[16:17], 0x0
	v_mov_b32_e32 v4, 63
	v_mul_lo_u16_sdwa v1, v1, v4 dst_sel:DWORD dst_unused:UNUSED_PAD src0_sel:WORD_1 src1_sel:DWORD
	v_sub_u16_e32 v50, v0, v1
	v_lshlrev_b32_e32 v48, 4, v50
	s_waitcnt lgkmcnt(0)
	v_mad_u64_u32 v[0:1], s[14:15], s2, v122, 0
	v_mov_b32_e32 v4, v1
	v_mad_u64_u32 v[4:5], s[2:3], s3, v122, v[4:5]
	v_mov_b32_e32 v1, v4
	;; [unrolled: 2-line block ×4, first 2 shown]
	v_lshl_add_u64 v[0:1], v[0:1], 4, v[2:3]
	v_lshl_add_u64 v[10:11], v[4:5], 4, v[0:1]
	global_load_dwordx4 v[2:5], v[10:11], off
	global_load_dwordx4 v[12:15], v48, s[8:9]
	v_mov_b32_e32 v49, v123
	v_lshl_add_u64 v[0:1], s[8:9], 0, v[48:49]
	v_lshl_add_u64 v[46:47], v[50:51], 0, 63
	s_mov_b32 s17, 0xbfee6f0e
	s_mov_b32 s19, 0xbfe2cf23
                                        ; implicit-def: $vgpr228_vgpr229
	s_waitcnt vmcnt(0)
	v_accvgpr_write_b32 a23, v15
	v_mul_f64 v[6:7], v[4:5], v[14:15]
	v_fmac_f64_e32 v[6:7], v[2:3], v[12:13]
	v_mul_f64 v[2:3], v[2:3], v[14:15]
	v_fma_f64 v[8:9], v[4:5], v[12:13], -v[2:3]
	ds_write_b128 v48, v[6:9]
	v_mov_b32_e32 v6, 0x13b0
	v_mad_u64_u32 v[2:3], s[2:3], s0, v6, v[10:11]
	s_movk_i32 s3, 0x1000
	s_mul_i32 s2, s1, 0x13b0
	v_add_co_u32_e32 v4, vcc, s3, v0
	v_add_u32_e32 v3, s2, v3
	s_nop 0
	v_addc_co_u32_e32 v5, vcc, 0, v1, vcc
	v_accvgpr_write_b32 a22, v14
	v_accvgpr_write_b32 a21, v13
	;; [unrolled: 1-line block ×3, first 2 shown]
	global_load_dwordx4 v[8:11], v[2:3], off
	global_load_dwordx4 v[14:17], v[4:5], off offset:944
	s_movk_i32 s3, 0x2000
	v_mov_b32_e32 v7, 0xffffdc90
	s_mulk_i32 s1, 0xdc90
	s_sub_i32 s1, s1, s0
	s_waitcnt vmcnt(0)
	v_mul_f64 v[12:13], v[10:11], v[16:17]
	v_accvgpr_write_b32 a0, v14
	v_fmac_f64_e32 v[12:13], v[8:9], v[14:15]
	v_mul_f64 v[8:9], v[8:9], v[16:17]
	v_accvgpr_write_b32 a1, v15
	v_accvgpr_write_b32 a2, v16
	;; [unrolled: 1-line block ×3, first 2 shown]
	v_mad_u64_u32 v[16:17], s[14:15], s0, v6, v[2:3]
	v_add_co_u32_e32 v2, vcc, s3, v0
	v_add_u32_e32 v17, s2, v17
	s_nop 0
	v_addc_co_u32_e32 v3, vcc, 0, v1, vcc
	v_fma_f64 v[14:15], v[10:11], v[14:15], -v[8:9]
	global_load_dwordx4 v[8:11], v[16:17], off
	global_load_dwordx4 v[18:21], v[2:3], off offset:1888
	ds_write_b128 v48, v[12:15] offset:5040
	v_mad_u64_u32 v[16:17], s[14:15], s0, v7, v[16:17]
	v_add_u32_e32 v17, s1, v17
	s_movk_i32 s3, 0x3000
	s_waitcnt vmcnt(0)
	v_mul_f64 v[12:13], v[10:11], v[20:21]
	v_fmac_f64_e32 v[12:13], v[8:9], v[18:19]
	v_mul_f64 v[8:9], v[8:9], v[20:21]
	v_fma_f64 v[14:15], v[10:11], v[18:19], -v[8:9]
	v_accvgpr_write_b32 a4, v18
	ds_write_b128 v48, v[12:15] offset:10080
	v_accvgpr_write_b32 a5, v19
	v_accvgpr_write_b32 a6, v20
	;; [unrolled: 1-line block ×3, first 2 shown]
	global_load_dwordx4 v[8:11], v[16:17], off
	global_load_dwordx4 v[18:21], v48, s[8:9] offset:1008
	v_mad_u64_u32 v[16:17], s[14:15], s0, v6, v[16:17]
	v_add_u32_e32 v17, s2, v17
	s_waitcnt vmcnt(0)
	v_mul_f64 v[12:13], v[10:11], v[20:21]
	v_fmac_f64_e32 v[12:13], v[8:9], v[18:19]
	v_mul_f64 v[8:9], v[8:9], v[20:21]
	v_fma_f64 v[14:15], v[10:11], v[18:19], -v[8:9]
	v_accvgpr_write_b32 a8, v18
	ds_write_b128 v48, v[12:15] offset:1008
	v_accvgpr_write_b32 a9, v19
	v_accvgpr_write_b32 a10, v20
	;; [unrolled: 1-line block ×3, first 2 shown]
	global_load_dwordx4 v[8:11], v[16:17], off
	global_load_dwordx4 v[18:21], v[4:5], off offset:1952
	v_mad_u64_u32 v[16:17], s[14:15], s0, v6, v[16:17]
	v_add_u32_e32 v17, s2, v17
	s_mov_b64 s[14:15], 0x7e
	v_lshl_add_u64 v[44:45], v[50:51], 0, s[14:15]
	v_mul_lo_u16_e32 v45, 3, v50
	v_lshlrev_b32_e32 v112, 4, v45
	s_waitcnt vmcnt(0)
	v_mul_f64 v[12:13], v[10:11], v[20:21]
	v_fmac_f64_e32 v[12:13], v[8:9], v[18:19]
	v_mul_f64 v[8:9], v[8:9], v[20:21]
	v_fma_f64 v[14:15], v[10:11], v[18:19], -v[8:9]
	v_accvgpr_write_b32 a12, v18
	ds_write_b128 v48, v[12:15] offset:6048
	v_accvgpr_write_b32 a13, v19
	v_accvgpr_write_b32 a14, v20
	;; [unrolled: 1-line block ×3, first 2 shown]
	global_load_dwordx4 v[8:11], v[16:17], off
	global_load_dwordx4 v[18:21], v[2:3], off offset:2896
	v_mad_u64_u32 v[16:17], s[14:15], s0, v7, v[16:17]
	v_add_u32_e32 v17, s1, v17
	s_waitcnt vmcnt(0)
	v_mul_f64 v[12:13], v[10:11], v[20:21]
	v_fmac_f64_e32 v[12:13], v[8:9], v[18:19]
	v_mul_f64 v[8:9], v[8:9], v[20:21]
	v_fma_f64 v[14:15], v[10:11], v[18:19], -v[8:9]
	v_accvgpr_write_b32 a16, v18
	ds_write_b128 v48, v[12:15] offset:11088
	v_accvgpr_write_b32 a17, v19
	v_accvgpr_write_b32 a18, v20
	;; [unrolled: 1-line block ×3, first 2 shown]
	global_load_dwordx4 v[8:11], v[16:17], off
	global_load_dwordx4 v[18:21], v48, s[8:9] offset:2016
	v_mad_u64_u32 v[16:17], s[14:15], s0, v6, v[16:17]
	v_add_u32_e32 v17, s2, v17
	s_waitcnt vmcnt(0)
	v_mul_f64 v[12:13], v[10:11], v[20:21]
	v_fmac_f64_e32 v[12:13], v[8:9], v[18:19]
	v_mul_f64 v[8:9], v[8:9], v[20:21]
	v_fma_f64 v[14:15], v[10:11], v[18:19], -v[8:9]
	v_accvgpr_write_b32 a27, v21
	ds_write_b128 v48, v[12:15] offset:2016
	v_accvgpr_write_b32 a26, v20
	v_accvgpr_write_b32 a25, v19
	;; [unrolled: 1-line block ×3, first 2 shown]
	global_load_dwordx4 v[8:11], v[16:17], off
	global_load_dwordx4 v[18:21], v[4:5], off offset:2960
	v_mad_u64_u32 v[16:17], s[14:15], s0, v6, v[16:17]
	v_add_u32_e32 v17, s2, v17
	s_mov_b64 s[14:15], 0xbd
	v_lshl_add_u64 v[124:125], v[50:51], 0, s[14:15]
	s_waitcnt vmcnt(0)
	v_mul_f64 v[12:13], v[10:11], v[20:21]
	v_fmac_f64_e32 v[12:13], v[8:9], v[18:19]
	v_mul_f64 v[8:9], v[8:9], v[20:21]
	v_fma_f64 v[14:15], v[10:11], v[18:19], -v[8:9]
	v_accvgpr_write_b32 a31, v21
	ds_write_b128 v48, v[12:15] offset:7056
	v_accvgpr_write_b32 a30, v20
	v_accvgpr_write_b32 a29, v19
	;; [unrolled: 1-line block ×3, first 2 shown]
	global_load_dwordx4 v[8:11], v[16:17], off
	global_load_dwordx4 v[18:21], v[2:3], off offset:3904
	v_mad_u64_u32 v[16:17], s[14:15], s0, v7, v[16:17]
	v_add_u32_e32 v17, s1, v17
	s_waitcnt vmcnt(0)
	v_mul_f64 v[12:13], v[10:11], v[20:21]
	v_fmac_f64_e32 v[12:13], v[8:9], v[18:19]
	v_mul_f64 v[8:9], v[8:9], v[20:21]
	v_fma_f64 v[14:15], v[10:11], v[18:19], -v[8:9]
	v_accvgpr_write_b32 a35, v21
	ds_write_b128 v48, v[12:15] offset:12096
	v_accvgpr_write_b32 a34, v20
	v_accvgpr_write_b32 a33, v19
	;; [unrolled: 1-line block ×3, first 2 shown]
	global_load_dwordx4 v[8:11], v[16:17], off
	global_load_dwordx4 v[18:21], v48, s[8:9] offset:3024
	v_mad_u64_u32 v[16:17], s[14:15], s0, v6, v[16:17]
	v_add_u32_e32 v17, s2, v17
	s_waitcnt vmcnt(0)
	v_mul_f64 v[12:13], v[10:11], v[20:21]
	v_fmac_f64_e32 v[12:13], v[8:9], v[18:19]
	v_mul_f64 v[8:9], v[8:9], v[20:21]
	v_fma_f64 v[14:15], v[10:11], v[18:19], -v[8:9]
	v_accvgpr_write_b32 a39, v21
	ds_write_b128 v48, v[12:15] offset:3024
	v_accvgpr_write_b32 a38, v20
	v_accvgpr_write_b32 a37, v19
	;; [unrolled: 1-line block ×3, first 2 shown]
	global_load_dwordx4 v[8:11], v[16:17], off
	global_load_dwordx4 v[18:21], v[4:5], off offset:3968
	s_waitcnt vmcnt(0)
	v_mul_f64 v[4:5], v[8:9], v[20:21]
	v_fma_f64 v[14:15], v[10:11], v[18:19], -v[4:5]
	v_mad_u64_u32 v[4:5], s[14:15], s0, v6, v[16:17]
	v_add_co_u32_e32 v16, vcc, s3, v0
	v_mul_f64 v[12:13], v[10:11], v[20:21]
	v_accvgpr_write_b32 a43, v21
	v_add_u32_e32 v5, s2, v5
	v_addc_co_u32_e32 v17, vcc, 0, v1, vcc
	v_fmac_f64_e32 v[12:13], v[8:9], v[18:19]
	v_accvgpr_write_b32 a42, v20
	v_accvgpr_write_b32 a41, v19
	;; [unrolled: 1-line block ×3, first 2 shown]
	global_load_dwordx4 v[8:11], v[4:5], off
	global_load_dwordx4 v[18:21], v[16:17], off offset:816
	ds_write_b128 v48, v[12:15] offset:8064
	s_mov_b64 s[14:15], 0xfc
	v_lshl_add_u64 v[136:137], v[50:51], 0, s[14:15]
	s_mov_b32 s3, 0xbfebb67a
	v_cmp_gt_u16_e32 vcc, 9, v50
	s_waitcnt vmcnt(0)
	v_mul_f64 v[12:13], v[10:11], v[20:21]
	v_mul_f64 v[0:1], v[8:9], v[20:21]
	v_fmac_f64_e32 v[12:13], v[8:9], v[18:19]
	v_fma_f64 v[14:15], v[10:11], v[18:19], -v[0:1]
	v_mad_u64_u32 v[0:1], s[14:15], s0, v7, v[4:5]
	v_accvgpr_write_b32 a47, v21
	ds_write_b128 v48, v[12:15] offset:13104
	v_add_u32_e32 v1, s1, v1
	v_accvgpr_write_b32 a46, v20
	v_accvgpr_write_b32 a45, v19
	;; [unrolled: 1-line block ×3, first 2 shown]
	global_load_dwordx4 v[8:11], v[0:1], off
	global_load_dwordx4 v[18:21], v48, s[8:9] offset:4032
	s_waitcnt vmcnt(0)
	v_mul_f64 v[12:13], v[10:11], v[20:21]
	v_mul_f64 v[4:5], v[8:9], v[20:21]
	v_fmac_f64_e32 v[12:13], v[8:9], v[18:19]
	v_fma_f64 v[14:15], v[10:11], v[18:19], -v[4:5]
	v_mad_u64_u32 v[4:5], s[14:15], s0, v6, v[0:1]
	ds_write_b128 v48, v[12:15] offset:4032
	v_add_u32_e32 v5, s2, v5
	global_load_dwordx4 v[8:11], v[4:5], off
	global_load_dwordx4 v[12:15], v[2:3], off offset:880
	v_mad_u64_u32 v[4:5], s[0:1], s0, v6, v[4:5]
	v_add_u32_e32 v5, s2, v5
	v_accvgpr_write_b32 a51, v21
	v_accvgpr_write_b32 a50, v20
	;; [unrolled: 1-line block ×4, first 2 shown]
	s_mov_b32 s0, 0xe8584caa
	s_mov_b32 s1, 0x3febb67a
	;; [unrolled: 1-line block ×3, first 2 shown]
	s_movk_i32 s14, 0xab
	v_mul_lo_u16_sdwa v45, v50, s14 dst_sel:DWORD dst_unused:UNUSED_PAD src0_sel:BYTE_0 src1_sel:DWORD
	v_lshrrev_b16_e32 v45, 9, v45
	v_mul_lo_u16_e32 v47, 3, v45
	v_sub_u16_e32 v47, v50, v47
	v_and_b32_e32 v47, 0xff, v47
	v_lshlrev_b32_e32 v49, 5, v47
	v_mul_u32_u24_e32 v45, 9, v45
	v_add_lshl_u32 v45, v45, v47, 4
	v_accvgpr_write_b32 a96, v45
	s_waitcnt vmcnt(0)
	v_mul_f64 v[0:1], v[10:11], v[14:15]
	v_mul_f64 v[2:3], v[8:9], v[14:15]
	v_fmac_f64_e32 v[0:1], v[8:9], v[12:13]
	v_fma_f64 v[2:3], v[10:11], v[12:13], -v[2:3]
	ds_write_b128 v48, v[0:3] offset:9072
	global_load_dwordx4 v[0:3], v[4:5], off
	global_load_dwordx4 v[6:9], v[16:17], off offset:1824
	v_accvgpr_write_b32 a55, v15
	v_accvgpr_write_b32 a54, v14
	;; [unrolled: 1-line block ×4, first 2 shown]
	s_waitcnt vmcnt(0)
	v_mul_f64 v[4:5], v[2:3], v[8:9]
	v_fmac_f64_e32 v[4:5], v[0:1], v[6:7]
	v_mul_f64 v[0:1], v[0:1], v[8:9]
	v_accvgpr_write_b32 a59, v9
	v_accvgpr_write_b32 a58, v8
	;; [unrolled: 1-line block ×4, first 2 shown]
	v_fma_f64 v[6:7], v[2:3], v[6:7], -v[0:1]
	ds_write_b128 v48, v[4:7] offset:14112
	s_waitcnt lgkmcnt(0)
	; wave barrier
	s_waitcnt lgkmcnt(0)
	ds_read_b128 v[0:3], v48
	ds_read_b128 v[20:23], v48 offset:5040
	ds_read_b128 v[24:27], v48 offset:10080
	;; [unrolled: 1-line block ×14, first 2 shown]
	s_waitcnt lgkmcnt(12)
	v_add_f64 v[70:71], v[20:21], v[24:25]
	v_add_f64 v[68:69], v[0:1], v[20:21]
	v_fmac_f64_e32 v[0:1], -0.5, v[70:71]
	v_add_f64 v[70:71], v[22:23], -v[26:27]
	v_fma_f64 v[72:73], s[0:1], v[70:71], v[0:1]
	v_fmac_f64_e32 v[0:1], s[2:3], v[70:71]
	v_add_f64 v[70:71], v[2:3], v[22:23]
	v_add_f64 v[22:23], v[22:23], v[26:27]
	v_fmac_f64_e32 v[2:3], -0.5, v[22:23]
	v_add_f64 v[20:21], v[20:21], -v[24:25]
	s_waitcnt lgkmcnt(9)
	v_add_f64 v[22:23], v[28:29], v[32:33]
	v_add_f64 v[70:71], v[70:71], v[26:27]
	v_fma_f64 v[74:75], s[2:3], v[20:21], v[2:3]
	v_fmac_f64_e32 v[2:3], s[0:1], v[20:21]
	v_add_f64 v[20:21], v[4:5], v[28:29]
	v_fmac_f64_e32 v[4:5], -0.5, v[22:23]
	v_add_f64 v[22:23], v[30:31], -v[34:35]
	v_add_f64 v[26:27], v[30:31], v[34:35]
	v_add_f64 v[68:69], v[68:69], v[24:25]
	v_fma_f64 v[24:25], s[0:1], v[22:23], v[4:5]
	v_fmac_f64_e32 v[4:5], s[2:3], v[22:23]
	v_add_f64 v[22:23], v[6:7], v[30:31]
	v_fmac_f64_e32 v[6:7], -0.5, v[26:27]
	v_add_f64 v[28:29], v[28:29], -v[32:33]
	s_waitcnt lgkmcnt(6)
	v_add_f64 v[30:31], v[36:37], v[40:41]
	v_add_f64 v[22:23], v[22:23], v[34:35]
	v_fma_f64 v[26:27], s[2:3], v[28:29], v[6:7]
	v_fmac_f64_e32 v[6:7], s[0:1], v[28:29]
	v_add_f64 v[28:29], v[8:9], v[36:37]
	v_fmac_f64_e32 v[8:9], -0.5, v[30:31]
	v_add_f64 v[30:31], v[38:39], -v[42:43]
	v_add_f64 v[34:35], v[38:39], v[42:43]
	v_add_f64 v[20:21], v[20:21], v[32:33]
	v_fma_f64 v[32:33], s[0:1], v[30:31], v[8:9]
	v_fmac_f64_e32 v[8:9], s[2:3], v[30:31]
	v_add_f64 v[30:31], v[10:11], v[38:39]
	v_fmac_f64_e32 v[10:11], -0.5, v[34:35]
	v_add_f64 v[36:37], v[36:37], -v[40:41]
	s_waitcnt lgkmcnt(3)
	v_add_f64 v[38:39], v[52:53], v[56:57]
	v_add_f64 v[30:31], v[30:31], v[42:43]
	v_fma_f64 v[34:35], s[2:3], v[36:37], v[10:11]
	v_fmac_f64_e32 v[10:11], s[0:1], v[36:37]
	v_add_f64 v[36:37], v[12:13], v[52:53]
	v_fmac_f64_e32 v[12:13], -0.5, v[38:39]
	v_add_f64 v[38:39], v[54:55], -v[58:59]
	v_add_f64 v[42:43], v[54:55], v[58:59]
	s_waitcnt lgkmcnt(0)
	; wave barrier
	s_waitcnt lgkmcnt(0)
	ds_write_b128 v112, v[68:71]
	ds_write_b128 v112, v[72:75] offset:16
	ds_write_b128 v112, v[0:3] offset:32
	v_mul_u32_u24_e32 v0, 3, v46
	v_add_f64 v[28:29], v[28:29], v[40:41]
	v_fma_f64 v[40:41], s[0:1], v[38:39], v[12:13]
	v_fmac_f64_e32 v[12:13], s[2:3], v[38:39]
	v_add_f64 v[38:39], v[14:15], v[54:55]
	v_fmac_f64_e32 v[14:15], -0.5, v[42:43]
	v_add_f64 v[52:53], v[52:53], -v[56:57]
	v_add_f64 v[54:55], v[60:61], v[64:65]
	v_lshlrev_b32_e32 v113, 4, v0
	v_mul_u32_u24_e32 v0, 3, v44
	v_add_f64 v[38:39], v[38:39], v[58:59]
	v_fma_f64 v[42:43], s[2:3], v[52:53], v[14:15]
	v_fmac_f64_e32 v[14:15], s[0:1], v[52:53]
	v_add_f64 v[52:53], v[16:17], v[60:61]
	v_fmac_f64_e32 v[16:17], -0.5, v[54:55]
	v_add_f64 v[54:55], v[62:63], -v[66:67]
	v_add_f64 v[58:59], v[62:63], v[66:67]
	v_lshlrev_b32_e32 v114, 4, v0
	v_mul_u32_u24_e32 v0, 3, v124
	v_add_f64 v[36:37], v[36:37], v[56:57]
	v_fma_f64 v[56:57], s[0:1], v[54:55], v[16:17]
	v_fmac_f64_e32 v[16:17], s[2:3], v[54:55]
	v_add_f64 v[54:55], v[18:19], v[62:63]
	v_fmac_f64_e32 v[18:19], -0.5, v[58:59]
	v_add_f64 v[60:61], v[60:61], -v[64:65]
	v_lshlrev_b32_e32 v115, 4, v0
	v_mul_u32_u24_e32 v0, 3, v136
	v_add_f64 v[52:53], v[52:53], v[64:65]
	v_add_f64 v[54:55], v[54:55], v[66:67]
	v_fma_f64 v[58:59], s[2:3], v[60:61], v[18:19]
	v_fmac_f64_e32 v[18:19], s[0:1], v[60:61]
	v_lshlrev_b32_e32 v116, 4, v0
	ds_write_b128 v113, v[20:23]
	ds_write_b128 v113, v[24:27] offset:16
	ds_write_b128 v113, v[4:7] offset:32
	ds_write_b128 v114, v[28:31]
	ds_write_b128 v114, v[32:35] offset:16
	ds_write_b128 v114, v[8:11] offset:32
	;; [unrolled: 3-line block ×4, first 2 shown]
	s_waitcnt lgkmcnt(0)
	; wave barrier
	s_waitcnt lgkmcnt(0)
	ds_read_b128 v[16:19], v48
	ds_read_b128 v[54:57], v48 offset:5040
	ds_read_b128 v[58:61], v48 offset:10080
	;; [unrolled: 1-line block ×14, first 2 shown]
	global_load_dwordx4 v[118:121], v49, s[10:11] offset:16
	global_load_dwordx4 v[66:69], v49, s[10:11]
	v_mul_lo_u16_sdwa v49, v46, s14 dst_sel:DWORD dst_unused:UNUSED_PAD src0_sel:BYTE_0 src1_sel:DWORD
	v_lshrrev_b16_e32 v78, 9, v49
	v_mul_lo_u16_e32 v49, 3, v78
	v_sub_u16_e32 v49, v46, v49
	v_and_b32_e32 v79, 0xff, v49
	v_lshlrev_b32_e32 v49, 5, v79
	s_waitcnt vmcnt(0) lgkmcnt(13)
	v_mul_f64 v[52:53], v[56:57], v[68:69]
	v_fma_f64 v[52:53], v[54:55], v[66:67], -v[52:53]
	v_mul_f64 v[54:55], v[54:55], v[68:69]
	v_accvgpr_write_b32 a60, v66
	v_accvgpr_write_b32 a61, v67
	;; [unrolled: 1-line block ×4, first 2 shown]
	v_fmac_f64_e32 v[54:55], v[56:57], v[66:67]
	global_load_dwordx4 v[66:69], v49, s[10:11] offset:16
	global_load_dwordx4 v[70:73], v49, s[10:11]
	s_waitcnt lgkmcnt(12)
	v_mul_f64 v[56:57], v[60:61], v[120:121]
	v_fma_f64 v[56:57], v[58:59], v[118:119], -v[56:57]
	v_mul_f64 v[58:59], v[58:59], v[120:121]
	v_fmac_f64_e32 v[58:59], v[60:61], v[118:119]
	s_waitcnt vmcnt(1)
	v_accvgpr_write_b32 a64, v66
	s_waitcnt vmcnt(0) lgkmcnt(10)
	v_mul_f64 v[60:61], v[64:65], v[72:73]
	v_fma_f64 v[60:61], v[62:63], v[70:71], -v[60:61]
	v_mul_f64 v[62:63], v[62:63], v[72:73]
	v_fmac_f64_e32 v[62:63], v[64:65], v[70:71]
	s_waitcnt lgkmcnt(9)
	v_mul_f64 v[64:65], v[42:43], v[68:69]
	v_fma_f64 v[64:65], v[40:41], v[66:67], -v[64:65]
	v_mul_f64 v[40:41], v[40:41], v[68:69]
	v_fmac_f64_e32 v[40:41], v[42:43], v[66:67]
	v_mul_lo_u16_sdwa v42, v44, s14 dst_sel:DWORD dst_unused:UNUSED_PAD src0_sel:BYTE_0 src1_sel:DWORD
	v_lshrrev_b16_e32 v49, 9, v42
	v_mul_lo_u16_e32 v42, 3, v49
	v_sub_u16_e32 v42, v44, v42
	v_and_b32_e32 v51, 0xff, v42
	v_accvgpr_write_b32 a68, v70
	v_lshlrev_b32_e32 v42, 5, v51
	v_accvgpr_write_b32 a69, v71
	v_accvgpr_write_b32 a70, v72
	;; [unrolled: 1-line block ×3, first 2 shown]
	global_load_dwordx4 v[70:73], v42, s[10:11] offset:16
	global_load_dwordx4 v[74:77], v42, s[10:11]
	v_accvgpr_write_b32 a65, v67
	v_accvgpr_write_b32 a66, v68
	;; [unrolled: 1-line block ×3, first 2 shown]
	s_waitcnt vmcnt(1)
	v_accvgpr_write_b32 a75, v73
	s_waitcnt vmcnt(0) lgkmcnt(7)
	v_mul_f64 v[42:43], v[38:39], v[76:77]
	v_fma_f64 v[66:67], v[36:37], v[74:75], -v[42:43]
	v_mul_f64 v[68:69], v[36:37], v[76:77]
	s_waitcnt lgkmcnt(6)
	v_mul_f64 v[36:37], v[34:35], v[72:73]
	v_fmac_f64_e32 v[68:69], v[38:39], v[74:75]
	v_fma_f64 v[38:39], v[32:33], v[70:71], -v[36:37]
	v_mul_f64 v[32:33], v[32:33], v[72:73]
	v_fmac_f64_e32 v[32:33], v[34:35], v[70:71]
	v_mul_lo_u16_sdwa v34, v124, s14 dst_sel:DWORD dst_unused:UNUSED_PAD src0_sel:BYTE_0 src1_sel:DWORD
	v_lshrrev_b16_e32 v80, 9, v34
	v_mul_lo_u16_e32 v34, 3, v80
	v_sub_u16_e32 v34, v124, v34
	v_and_b32_e32 v81, 0xff, v34
	v_accvgpr_write_b32 a79, v77
	v_lshlrev_b32_e32 v34, 5, v81
	v_accvgpr_write_b32 a78, v76
	v_accvgpr_write_b32 a77, v75
	;; [unrolled: 1-line block ×3, first 2 shown]
	global_load_dwordx4 v[82:85], v34, s[10:11] offset:16
	global_load_dwordx4 v[74:77], v34, s[10:11]
	v_accvgpr_write_b32 a74, v72
	v_accvgpr_write_b32 a73, v71
	;; [unrolled: 1-line block ×3, first 2 shown]
	s_mov_b32 s14, 0xaaab
	s_waitcnt vmcnt(1)
	v_accvgpr_write_b32 a80, v82
	s_waitcnt vmcnt(0) lgkmcnt(4)
	v_mul_f64 v[34:35], v[94:95], v[76:77]
	v_fma_f64 v[70:71], v[92:93], v[74:75], -v[34:35]
	v_mul_f64 v[72:73], v[92:93], v[76:77]
	v_accvgpr_write_b32 a87, v77
	s_waitcnt lgkmcnt(3)
	v_mul_f64 v[34:35], v[30:31], v[84:85]
	v_accvgpr_write_b32 a86, v76
	v_accvgpr_write_b32 a85, v75
	;; [unrolled: 1-line block ×3, first 2 shown]
	v_fmac_f64_e32 v[72:73], v[94:95], v[74:75]
	v_fma_f64 v[74:75], v[28:29], v[82:83], -v[34:35]
	v_mul_f64 v[76:77], v[28:29], v[84:85]
	v_mul_u32_u24_sdwa v28, v136, s14 dst_sel:DWORD dst_unused:UNUSED_PAD src0_sel:WORD_0 src1_sel:DWORD
	v_lshrrev_b32_e32 v98, 17, v28
	v_mul_lo_u16_e32 v28, 3, v98
	v_sub_u16_e32 v99, v136, v28
	v_lshlrev_b16_e32 v28, 1, v99
	v_lshlrev_b32_e32 v28, 4, v28
	v_accvgpr_write_b32 a81, v83
	v_accvgpr_write_b32 a82, v84
	;; [unrolled: 1-line block ×3, first 2 shown]
	v_fmac_f64_e32 v[76:77], v[30:31], v[82:83]
	global_load_dwordx4 v[34:37], v28, s[10:11] offset:16
	global_load_dwordx4 v[82:85], v28, s[10:11]
	s_waitcnt lgkmcnt(0)
	; wave barrier
	s_waitcnt lgkmcnt(0)
	s_mov_b32 s14, 0xe38f
	s_waitcnt vmcnt(1)
	v_mul_f64 v[96:97], v[20:21], v[36:37]
	s_waitcnt vmcnt(0)
	v_mul_f64 v[28:29], v[26:27], v[84:85]
	v_fma_f64 v[90:91], v[24:25], v[82:83], -v[28:29]
	v_mul_f64 v[92:93], v[24:25], v[84:85]
	v_mul_f64 v[24:25], v[22:23], v[36:37]
	v_accvgpr_write_b32 a95, v85
	v_fma_f64 v[94:95], v[20:21], v[34:35], -v[24:25]
	v_add_f64 v[20:21], v[16:17], v[52:53]
	v_accvgpr_write_b32 a94, v84
	v_accvgpr_write_b32 a93, v83
	;; [unrolled: 1-line block ×3, first 2 shown]
	v_fmac_f64_e32 v[92:93], v[26:27], v[82:83]
	v_add_f64 v[82:83], v[20:21], v[56:57]
	v_add_f64 v[20:21], v[52:53], v[56:57]
	v_fmac_f64_e32 v[16:17], -0.5, v[20:21]
	v_add_f64 v[20:21], v[54:55], -v[58:59]
	v_fma_f64 v[86:87], s[0:1], v[20:21], v[16:17]
	v_fmac_f64_e32 v[16:17], s[2:3], v[20:21]
	v_add_f64 v[20:21], v[18:19], v[54:55]
	v_add_f64 v[84:85], v[20:21], v[58:59]
	v_add_f64 v[20:21], v[54:55], v[58:59]
	v_fmac_f64_e32 v[18:19], -0.5, v[20:21]
	v_add_f64 v[20:21], v[52:53], -v[56:57]
	v_fma_f64 v[88:89], s[2:3], v[20:21], v[18:19]
	v_fmac_f64_e32 v[18:19], s[0:1], v[20:21]
	v_add_f64 v[20:21], v[12:13], v[60:61]
	;; [unrolled: 7-line block ×4, first 2 shown]
	v_add_f64 v[40:41], v[20:21], v[38:39]
	v_add_f64 v[20:21], v[66:67], v[38:39]
	v_accvgpr_write_b32 a91, v37
	v_fmac_f64_e32 v[8:9], -0.5, v[20:21]
	v_add_f64 v[20:21], v[68:69], -v[32:33]
	v_accvgpr_write_b32 a90, v36
	v_accvgpr_write_b32 a89, v35
	;; [unrolled: 1-line block ×3, first 2 shown]
	v_fma_f64 v[36:37], s[0:1], v[20:21], v[8:9]
	v_fmac_f64_e32 v[8:9], s[2:3], v[20:21]
	v_add_f64 v[20:21], v[10:11], v[68:69]
	v_add_f64 v[42:43], v[20:21], v[32:33]
	;; [unrolled: 1-line block ×3, first 2 shown]
	v_fmac_f64_e32 v[10:11], -0.5, v[20:21]
	v_add_f64 v[20:21], v[66:67], -v[38:39]
	v_fma_f64 v[38:39], s[2:3], v[20:21], v[10:11]
	v_fmac_f64_e32 v[10:11], s[0:1], v[20:21]
	v_add_f64 v[20:21], v[4:5], v[70:71]
	v_add_f64 v[32:33], v[20:21], v[74:75]
	;; [unrolled: 1-line block ×3, first 2 shown]
	v_fmac_f64_e32 v[4:5], -0.5, v[20:21]
	v_add_f64 v[20:21], v[72:73], -v[76:77]
	v_fma_f64 v[28:29], s[0:1], v[20:21], v[4:5]
	v_fmac_f64_e32 v[4:5], s[2:3], v[20:21]
	v_add_f64 v[20:21], v[6:7], v[72:73]
	v_fmac_f64_e32 v[96:97], v[22:23], v[34:35]
	v_add_f64 v[34:35], v[20:21], v[76:77]
	v_add_f64 v[20:21], v[72:73], v[76:77]
	v_fmac_f64_e32 v[6:7], -0.5, v[20:21]
	v_add_f64 v[20:21], v[70:71], -v[74:75]
	ds_write_b128 v45, v[82:85]
	ds_write_b128 v45, v[86:89] offset:48
	ds_write_b128 v45, v[16:19] offset:96
	v_mul_u32_u24_e32 v16, 9, v78
	v_fma_f64 v[30:31], s[2:3], v[20:21], v[6:7]
	v_fmac_f64_e32 v[6:7], s[0:1], v[20:21]
	v_add_f64 v[20:21], v[0:1], v[90:91]
	v_add_lshl_u32 v16, v16, v79, 4
	v_mov_b32_e32 v70, 57
	v_add_f64 v[24:25], v[20:21], v[94:95]
	v_add_f64 v[20:21], v[90:91], v[94:95]
	ds_write_b128 v16, v[52:55]
	ds_write_b128 v16, v[56:59] offset:48
	ds_write_b128 v16, v[12:15] offset:96
	v_mul_u32_u24_e32 v12, 9, v49
	v_mul_lo_u16_sdwa v45, v50, v70 dst_sel:DWORD dst_unused:UNUSED_PAD src0_sel:BYTE_0 src1_sel:DWORD
	v_fmac_f64_e32 v[0:1], -0.5, v[20:21]
	v_add_f64 v[22:23], v[92:93], -v[96:97]
	v_add_lshl_u32 v12, v12, v51, 4
	v_lshrrev_b16_e32 v45, 9, v45
	v_fma_f64 v[20:21], s[0:1], v[22:23], v[0:1]
	v_fmac_f64_e32 v[0:1], s[2:3], v[22:23]
	v_add_f64 v[22:23], v[2:3], v[92:93]
	ds_write_b128 v12, v[40:43]
	ds_write_b128 v12, v[36:39] offset:48
	ds_write_b128 v12, v[8:11] offset:96
	v_mul_u32_u24_e32 v8, 9, v80
	v_mul_lo_u16_e32 v47, 9, v45
	v_add_f64 v[26:27], v[22:23], v[96:97]
	v_add_f64 v[22:23], v[92:93], v[96:97]
	v_add_lshl_u32 v8, v8, v81, 4
	v_sub_u16_e32 v47, v50, v47
	v_fmac_f64_e32 v[2:3], -0.5, v[22:23]
	v_add_f64 v[60:61], v[90:91], -v[94:95]
	ds_write_b128 v8, v[32:35]
	ds_write_b128 v8, v[28:31] offset:48
	ds_write_b128 v8, v[4:7] offset:96
	v_mad_legacy_u16 v4, v98, 9, v99
	v_and_b32_e32 v47, 0xff, v47
	v_fma_f64 v[22:23], s[2:3], v[60:61], v[2:3]
	v_fmac_f64_e32 v[2:3], s[0:1], v[60:61]
	v_lshlrev_b32_e32 v4, 4, v4
	v_lshlrev_b32_e32 v49, 5, v47
	v_accvgpr_write_b32 a97, v16
	v_accvgpr_write_b32 a98, v12
	;; [unrolled: 1-line block ×3, first 2 shown]
	ds_write_b128 v4, v[24:27]
	ds_write_b128 v4, v[20:23] offset:48
	v_accvgpr_write_b32 a100, v4
	ds_write_b128 v4, v[0:3] offset:96
	s_waitcnt lgkmcnt(0)
	; wave barrier
	s_waitcnt lgkmcnt(0)
	ds_read_b128 v[16:19], v48
	ds_read_b128 v[54:57], v48 offset:5040
	ds_read_b128 v[58:61], v48 offset:10080
	;; [unrolled: 1-line block ×14, first 2 shown]
	global_load_dwordx4 v[66:69], v49, s[10:11] offset:112
	global_load_dwordx4 v[72:75], v49, s[10:11] offset:96
	v_mul_lo_u16_sdwa v49, v46, v70 dst_sel:DWORD dst_unused:UNUSED_PAD src0_sel:BYTE_0 src1_sel:DWORD
	v_lshrrev_b16_e32 v49, 9, v49
	v_mul_lo_u16_e32 v51, 9, v49
	v_sub_u16_e32 v51, v46, v51
	v_and_b32_e32 v51, 0xff, v51
	s_waitcnt vmcnt(1)
	v_accvgpr_write_b32 a105, v69
	s_waitcnt vmcnt(0) lgkmcnt(13)
	v_mul_f64 v[52:53], v[56:57], v[74:75]
	v_fma_f64 v[52:53], v[54:55], v[72:73], -v[52:53]
	v_mul_f64 v[54:55], v[54:55], v[74:75]
	v_fmac_f64_e32 v[54:55], v[56:57], v[72:73]
	s_waitcnt lgkmcnt(12)
	v_mul_f64 v[56:57], v[60:61], v[68:69]
	v_fma_f64 v[56:57], v[58:59], v[66:67], -v[56:57]
	v_mul_f64 v[58:59], v[58:59], v[68:69]
	v_accvgpr_write_b32 a109, v75
	v_fmac_f64_e32 v[58:59], v[60:61], v[66:67]
	v_lshlrev_b32_e32 v60, 5, v51
	v_accvgpr_write_b32 a108, v74
	v_accvgpr_write_b32 a107, v73
	;; [unrolled: 1-line block ×6, first 2 shown]
	global_load_dwordx4 v[66:69], v60, s[10:11] offset:112
	global_load_dwordx4 v[72:75], v60, s[10:11] offset:96
	s_waitcnt vmcnt(1)
	v_accvgpr_write_b32 a113, v69
	s_waitcnt vmcnt(0) lgkmcnt(10)
	v_mul_f64 v[60:61], v[64:65], v[74:75]
	v_fma_f64 v[60:61], v[62:63], v[72:73], -v[60:61]
	v_mul_f64 v[62:63], v[62:63], v[74:75]
	v_fmac_f64_e32 v[62:63], v[64:65], v[72:73]
	s_waitcnt lgkmcnt(9)
	v_mul_f64 v[64:65], v[42:43], v[68:69]
	v_fma_f64 v[64:65], v[40:41], v[66:67], -v[64:65]
	v_mul_f64 v[40:41], v[40:41], v[68:69]
	v_fmac_f64_e32 v[40:41], v[42:43], v[66:67]
	v_mul_lo_u16_sdwa v42, v44, v70 dst_sel:DWORD dst_unused:UNUSED_PAD src0_sel:BYTE_0 src1_sel:DWORD
	v_accvgpr_write_b32 a112, v68
	v_accvgpr_write_b32 a111, v67
	;; [unrolled: 1-line block ×3, first 2 shown]
	v_lshrrev_b16_e32 v68, 9, v42
	v_mul_lo_u16_e32 v42, 9, v68
	v_sub_u16_e32 v42, v44, v42
	v_and_b32_e32 v69, 0xff, v42
	v_accvgpr_write_b32 a117, v75
	v_lshlrev_b32_e32 v42, 5, v69
	v_accvgpr_write_b32 a116, v74
	v_accvgpr_write_b32 a115, v73
	;; [unrolled: 1-line block ×3, first 2 shown]
	global_load_dwordx4 v[72:75], v42, s[10:11] offset:112
	global_load_dwordx4 v[76:79], v42, s[10:11] offset:96
	s_waitcnt vmcnt(1)
	v_accvgpr_write_b32 a121, v75
	s_waitcnt vmcnt(0) lgkmcnt(7)
	v_mul_f64 v[42:43], v[38:39], v[78:79]
	v_fma_f64 v[42:43], v[36:37], v[76:77], -v[42:43]
	v_mul_f64 v[66:67], v[36:37], v[78:79]
	s_waitcnt lgkmcnt(6)
	v_mul_f64 v[36:37], v[34:35], v[74:75]
	v_fmac_f64_e32 v[66:67], v[38:39], v[76:77]
	v_fma_f64 v[38:39], v[32:33], v[72:73], -v[36:37]
	v_mul_f64 v[32:33], v[32:33], v[74:75]
	v_fmac_f64_e32 v[32:33], v[34:35], v[72:73]
	v_mul_lo_u16_sdwa v34, v124, v70 dst_sel:DWORD dst_unused:UNUSED_PAD src0_sel:BYTE_0 src1_sel:DWORD
	v_lshrrev_b16_e32 v70, 9, v34
	v_mul_lo_u16_e32 v34, 9, v70
	v_sub_u16_e32 v34, v124, v34
	v_and_b32_e32 v71, 0xff, v34
	v_lshlrev_b32_e32 v34, 5, v71
	global_load_dwordx4 v[124:127], v34, s[10:11] offset:112
	global_load_dwordx4 v[128:131], v34, s[10:11] offset:96
	v_accvgpr_write_b32 a120, v74
	v_accvgpr_write_b32 a119, v73
	;; [unrolled: 1-line block ×7, first 2 shown]
	s_waitcnt vmcnt(1) lgkmcnt(3)
	v_mul_f64 v[86:87], v[28:29], v[126:127]
	s_waitcnt vmcnt(0)
	v_mul_f64 v[34:35], v[134:135], v[130:131]
	v_fma_f64 v[80:81], v[132:133], v[128:129], -v[34:35]
	v_mul_f64 v[34:35], v[30:31], v[126:127]
	v_fma_f64 v[84:85], v[28:29], v[124:125], -v[34:35]
	v_mul_u32_u24_sdwa v28, v136, s14 dst_sel:DWORD dst_unused:UNUSED_PAD src0_sel:WORD_0 src1_sel:DWORD
	v_lshrrev_b32_e32 v96, 19, v28
	v_mul_lo_u16_e32 v28, 9, v96
	v_sub_u16_e32 v97, v136, v28
	v_lshlrev_b16_e32 v28, 5, v97
	v_mov_b32_e32 v29, v123
	v_mul_f64 v[82:83], v[132:133], v[130:131]
	v_lshl_add_u64 v[28:29], s[10:11], 0, v[28:29]
	v_fmac_f64_e32 v[82:83], v[134:135], v[128:129]
	global_load_dwordx4 v[132:135], v[28:29], off offset:112
	global_load_dwordx4 v[136:139], v[28:29], off offset:96
	v_fmac_f64_e32 v[86:87], v[30:31], v[124:125]
	s_waitcnt lgkmcnt(0)
	; wave barrier
	s_waitcnt lgkmcnt(0)
	s_mov_b32 s14, 0x372fe950
	s_mov_b32 s15, 0x3fd3c6ef
	s_waitcnt vmcnt(1)
	v_mul_f64 v[94:95], v[20:21], v[134:135]
	s_waitcnt vmcnt(0)
	v_mul_f64 v[28:29], v[26:27], v[138:139]
	v_fma_f64 v[88:89], v[24:25], v[136:137], -v[28:29]
	v_mul_f64 v[90:91], v[24:25], v[138:139]
	v_mul_f64 v[24:25], v[22:23], v[134:135]
	v_fma_f64 v[92:93], v[20:21], v[132:133], -v[24:25]
	v_add_f64 v[20:21], v[16:17], v[52:53]
	v_add_f64 v[72:73], v[20:21], v[56:57]
	v_add_f64 v[20:21], v[52:53], v[56:57]
	v_fmac_f64_e32 v[16:17], -0.5, v[20:21]
	v_add_f64 v[20:21], v[54:55], -v[58:59]
	v_fma_f64 v[76:77], s[0:1], v[20:21], v[16:17]
	v_fmac_f64_e32 v[16:17], s[2:3], v[20:21]
	v_add_f64 v[20:21], v[18:19], v[54:55]
	v_add_f64 v[74:75], v[20:21], v[58:59]
	v_add_f64 v[20:21], v[54:55], v[58:59]
	v_fmac_f64_e32 v[18:19], -0.5, v[20:21]
	v_add_f64 v[20:21], v[52:53], -v[56:57]
	v_fma_f64 v[78:79], s[2:3], v[20:21], v[18:19]
	v_fmac_f64_e32 v[18:19], s[0:1], v[20:21]
	;; [unrolled: 7-line block ×8, first 2 shown]
	v_add_f64 v[20:21], v[0:1], v[88:89]
	v_fmac_f64_e32 v[90:91], v[26:27], v[136:137]
	v_fmac_f64_e32 v[94:95], v[22:23], v[132:133]
	v_add_f64 v[24:25], v[20:21], v[92:93]
	v_add_f64 v[20:21], v[88:89], v[92:93]
	v_fmac_f64_e32 v[0:1], -0.5, v[20:21]
	v_add_f64 v[22:23], v[90:91], -v[94:95]
	v_fma_f64 v[20:21], s[0:1], v[22:23], v[0:1]
	v_fmac_f64_e32 v[0:1], s[2:3], v[22:23]
	v_add_f64 v[22:23], v[2:3], v[90:91]
	v_add_f64 v[26:27], v[22:23], v[94:95]
	;; [unrolled: 1-line block ×3, first 2 shown]
	v_fmac_f64_e32 v[2:3], -0.5, v[22:23]
	v_add_f64 v[40:41], v[88:89], -v[92:93]
	v_fma_f64 v[22:23], s[2:3], v[40:41], v[2:3]
	v_fmac_f64_e32 v[2:3], s[0:1], v[40:41]
	v_mul_lo_u16_e32 v40, 27, v45
	v_and_b32_e32 v40, 0xff, v40
	v_add_lshl_u32 v123, v40, v47, 4
	ds_write_b128 v123, v[72:75]
	ds_write_b128 v123, v[76:79] offset:144
	ds_write_b128 v123, v[16:19] offset:288
	v_mul_u32_u24_e32 v16, 27, v49
	v_add_lshl_u32 v16, v16, v51, 4
	v_mov_b32_e32 v45, 19
	ds_write_b128 v16, v[52:55]
	ds_write_b128 v16, v[56:59] offset:144
	ds_write_b128 v16, v[12:15] offset:288
	v_mul_u32_u24_e32 v12, 27, v68
	v_mul_lo_u16_sdwa v40, v50, v45 dst_sel:DWORD dst_unused:UNUSED_PAD src0_sel:BYTE_0 src1_sel:DWORD
	v_add_lshl_u32 v12, v12, v69, 4
	v_lshrrev_b16_e32 v79, 9, v40
	ds_write_b128 v12, v[60:63]
	ds_write_b128 v12, v[36:39] offset:144
	ds_write_b128 v12, v[8:11] offset:288
	v_mul_u32_u24_e32 v8, 27, v70
	v_mul_lo_u16_e32 v40, 27, v79
	v_mul_lo_u16_sdwa v47, v46, v45 dst_sel:DWORD dst_unused:UNUSED_PAD src0_sel:BYTE_0 src1_sel:DWORD
	v_add_lshl_u32 v8, v8, v71, 4
	v_sub_u16_e32 v40, v50, v40
	v_lshrrev_b16_e32 v49, 9, v47
	ds_write_b128 v8, v[32:35]
	ds_write_b128 v8, v[28:31] offset:144
	ds_write_b128 v8, v[4:7] offset:288
	v_mad_legacy_u16 v4, v96, 27, v97
	v_and_b32_e32 v80, 0xff, v40
	v_mul_lo_u16_e32 v47, 27, v49
	v_lshlrev_b32_e32 v4, 4, v4
	v_lshlrev_b32_e32 v40, 6, v80
	v_sub_u16_e32 v46, v46, v47
	v_accvgpr_write_b32 a101, v16
	v_accvgpr_write_b32 a126, v12
	;; [unrolled: 1-line block ×3, first 2 shown]
	ds_write_b128 v4, v[24:27]
	ds_write_b128 v4, v[20:23] offset:144
	v_accvgpr_write_b32 a128, v4
	ds_write_b128 v4, v[0:3] offset:288
	s_waitcnt lgkmcnt(0)
	; wave barrier
	s_waitcnt lgkmcnt(0)
	ds_read_b128 v[12:15], v48
	ds_read_b128 v[32:35], v48 offset:3024
	ds_read_b128 v[36:39], v48 offset:6048
	;; [unrolled: 1-line block ×14, first 2 shown]
	global_load_dwordx4 v[140:143], v40, s[10:11] offset:432
	global_load_dwordx4 v[144:147], v40, s[10:11] offset:416
	;; [unrolled: 1-line block ×4, first 2 shown]
	v_and_b32_e32 v78, 0xff, v46
	v_lshlrev_b32_e32 v46, 6, v78
	global_load_dwordx4 v[156:159], v46, s[10:11] offset:432
	global_load_dwordx4 v[160:163], v46, s[10:11] offset:416
	global_load_dwordx4 v[164:167], v46, s[10:11] offset:400
	global_load_dwordx4 v[168:171], v46, s[10:11] offset:384
	s_mov_b32 s2, 0x134454ff
	s_mov_b32 s3, 0x3fee6f0e
	;; [unrolled: 1-line block ×6, first 2 shown]
	s_waitcnt vmcnt(3) lgkmcnt(5)
	v_mul_f64 v[66:67], v[30:31], v[158:159]
	v_mul_f64 v[40:41], v[34:35], v[154:155]
	v_fma_f64 v[66:67], v[28:29], v[156:157], -v[66:67]
	v_mul_f64 v[28:29], v[28:29], v[158:159]
	v_fma_f64 v[40:41], v[32:33], v[152:153], -v[40:41]
	v_mul_f64 v[32:33], v[32:33], v[154:155]
	v_fmac_f64_e32 v[28:29], v[30:31], v[156:157]
	v_mul_lo_u16_sdwa v30, v44, v45 dst_sel:DWORD dst_unused:UNUSED_PAD src0_sel:BYTE_0 src1_sel:DWORD
	v_fmac_f64_e32 v[32:33], v[34:35], v[152:153]
	v_mul_f64 v[34:35], v[38:39], v[150:151]
	v_lshrrev_b16_e32 v45, 9, v30
	v_fma_f64 v[42:43], v[36:37], v[148:149], -v[34:35]
	v_mul_f64 v[34:35], v[36:37], v[150:151]
	v_mul_f64 v[36:37], v[56:57], v[146:147]
	v_mul_lo_u16_e32 v30, 27, v45
	v_fmac_f64_e32 v[34:35], v[38:39], v[148:149]
	v_fma_f64 v[52:53], v[54:55], v[144:145], -v[36:37]
	v_mul_f64 v[36:37], v[54:55], v[146:147]
	v_mul_f64 v[38:39], v[60:61], v[142:143]
	v_sub_u16_e32 v30, v44, v30
	v_fmac_f64_e32 v[36:37], v[56:57], v[144:145]
	v_fma_f64 v[54:55], v[58:59], v[140:141], -v[38:39]
	v_mul_f64 v[38:39], v[58:59], v[142:143]
	s_waitcnt vmcnt(0)
	v_mul_f64 v[46:47], v[182:183], v[170:171]
	v_mul_f64 v[56:57], v[178:179], v[166:167]
	;; [unrolled: 1-line block ×3, first 2 shown]
	v_and_b32_e32 v51, 0xff, v30
	v_fmac_f64_e32 v[38:39], v[60:61], v[140:141]
	v_fma_f64 v[60:61], v[180:181], v[168:169], -v[46:47]
	v_mul_f64 v[46:47], v[180:181], v[170:171]
	v_fma_f64 v[62:63], v[176:177], v[164:165], -v[56:57]
	v_mul_f64 v[56:57], v[176:177], v[166:167]
	;; [unrolled: 2-line block ×3, first 2 shown]
	v_lshlrev_b32_e32 v30, 6, v51
	v_fmac_f64_e32 v[46:47], v[182:183], v[168:169]
	v_fmac_f64_e32 v[56:57], v[178:179], v[164:165]
	;; [unrolled: 1-line block ×3, first 2 shown]
	global_load_dwordx4 v[172:175], v30, s[10:11] offset:432
	global_load_dwordx4 v[176:179], v30, s[10:11] offset:416
	;; [unrolled: 1-line block ×4, first 2 shown]
	s_waitcnt lgkmcnt(0)
	; wave barrier
	s_waitcnt vmcnt(3) lgkmcnt(0)
	v_mul_f64 v[76:77], v[4:5], v[174:175]
	s_waitcnt vmcnt(2)
	v_mul_f64 v[72:73], v[16:17], v[178:179]
	s_waitcnt vmcnt(1)
	;; [unrolled: 2-line block ×3, first 2 shown]
	v_mul_f64 v[30:31], v[26:27], v[186:187]
	v_fma_f64 v[70:71], v[24:25], v[184:185], -v[30:31]
	v_mul_f64 v[30:31], v[24:25], v[186:187]
	v_mul_f64 v[24:25], v[22:23], v[182:183]
	v_fma_f64 v[74:75], v[20:21], v[180:181], -v[24:25]
	v_mul_f64 v[20:21], v[18:19], v[178:179]
	v_fmac_f64_e32 v[68:69], v[22:23], v[180:181]
	v_fma_f64 v[22:23], v[16:17], v[176:177], -v[20:21]
	v_mul_f64 v[16:17], v[6:7], v[174:175]
	v_fmac_f64_e32 v[30:31], v[26:27], v[184:185]
	v_fma_f64 v[26:27], v[4:5], v[172:173], -v[16:17]
	v_add_f64 v[4:5], v[12:13], v[40:41]
	v_add_f64 v[4:5], v[4:5], v[42:43]
	;; [unrolled: 1-line block ×5, first 2 shown]
	v_fma_f64 v[196:197], -0.5, v[4:5], v[12:13]
	v_add_f64 v[4:5], v[32:33], -v[38:39]
	v_fmac_f64_e32 v[72:73], v[18:19], v[176:177]
	v_fmac_f64_e32 v[76:77], v[6:7], v[172:173]
	v_fma_f64 v[208:209], s[2:3], v[4:5], v[196:197]
	v_add_f64 v[6:7], v[34:35], -v[36:37]
	v_add_f64 v[16:17], v[40:41], -v[42:43]
	;; [unrolled: 1-line block ×3, first 2 shown]
	v_fmac_f64_e32 v[196:197], s[16:17], v[4:5]
	v_fmac_f64_e32 v[208:209], s[0:1], v[6:7]
	v_add_f64 v[16:17], v[16:17], v[18:19]
	v_fmac_f64_e32 v[196:197], s[18:19], v[6:7]
	v_fmac_f64_e32 v[208:209], s[14:15], v[16:17]
	;; [unrolled: 1-line block ×3, first 2 shown]
	v_add_f64 v[16:17], v[40:41], v[54:55]
	v_fmac_f64_e32 v[12:13], -0.5, v[16:17]
	v_fma_f64 v[204:205], s[16:17], v[6:7], v[12:13]
	v_fmac_f64_e32 v[12:13], s[2:3], v[6:7]
	v_fmac_f64_e32 v[204:205], s[0:1], v[4:5]
	;; [unrolled: 1-line block ×3, first 2 shown]
	v_add_f64 v[4:5], v[14:15], v[32:33]
	v_add_f64 v[4:5], v[4:5], v[34:35]
	;; [unrolled: 1-line block ×3, first 2 shown]
	v_add_f64 v[16:17], v[42:43], -v[40:41]
	v_add_f64 v[18:19], v[52:53], -v[54:55]
	v_add_f64 v[218:219], v[4:5], v[38:39]
	v_add_f64 v[4:5], v[34:35], v[36:37]
	;; [unrolled: 1-line block ×3, first 2 shown]
	v_fma_f64 v[198:199], -0.5, v[4:5], v[14:15]
	v_add_f64 v[4:5], v[40:41], -v[54:55]
	v_fmac_f64_e32 v[204:205], s[14:15], v[16:17]
	v_fmac_f64_e32 v[12:13], s[14:15], v[16:17]
	v_fma_f64 v[210:211], s[16:17], v[4:5], v[198:199]
	v_add_f64 v[6:7], v[42:43], -v[52:53]
	v_add_f64 v[16:17], v[32:33], -v[34:35]
	;; [unrolled: 1-line block ×3, first 2 shown]
	v_fmac_f64_e32 v[198:199], s[2:3], v[4:5]
	v_fmac_f64_e32 v[210:211], s[18:19], v[6:7]
	v_add_f64 v[16:17], v[16:17], v[18:19]
	v_fmac_f64_e32 v[198:199], s[0:1], v[6:7]
	v_fmac_f64_e32 v[210:211], s[14:15], v[16:17]
	;; [unrolled: 1-line block ×3, first 2 shown]
	v_add_f64 v[16:17], v[32:33], v[38:39]
	v_fmac_f64_e32 v[14:15], -0.5, v[16:17]
	v_fma_f64 v[206:207], s[2:3], v[6:7], v[14:15]
	v_fmac_f64_e32 v[14:15], s[16:17], v[6:7]
	v_fmac_f64_e32 v[206:207], s[18:19], v[4:5]
	;; [unrolled: 1-line block ×3, first 2 shown]
	v_add_f64 v[4:5], v[8:9], v[60:61]
	v_add_f64 v[4:5], v[4:5], v[62:63]
	v_add_f64 v[16:17], v[34:35], -v[32:33]
	v_add_f64 v[18:19], v[36:37], -v[38:39]
	v_add_f64 v[4:5], v[4:5], v[64:65]
	v_add_f64 v[16:17], v[16:17], v[18:19]
	v_add_f64 v[212:213], v[4:5], v[66:67]
	v_add_f64 v[4:5], v[62:63], v[64:65]
	v_fmac_f64_e32 v[206:207], s[14:15], v[16:17]
	v_fmac_f64_e32 v[14:15], s[14:15], v[16:17]
	v_fma_f64 v[16:17], -0.5, v[4:5], v[8:9]
	v_add_f64 v[4:5], v[46:47], -v[28:29]
	v_fma_f64 v[200:201], s[2:3], v[4:5], v[16:17]
	v_add_f64 v[6:7], v[56:57], -v[58:59]
	v_add_f64 v[18:19], v[60:61], -v[62:63]
	;; [unrolled: 1-line block ×3, first 2 shown]
	v_fmac_f64_e32 v[16:17], s[16:17], v[4:5]
	v_fmac_f64_e32 v[200:201], s[0:1], v[6:7]
	v_add_f64 v[18:19], v[18:19], v[20:21]
	v_fmac_f64_e32 v[16:17], s[18:19], v[6:7]
	v_fmac_f64_e32 v[200:201], s[14:15], v[18:19]
	;; [unrolled: 1-line block ×3, first 2 shown]
	v_add_f64 v[18:19], v[60:61], v[66:67]
	v_fmac_f64_e32 v[8:9], -0.5, v[18:19]
	v_fma_f64 v[192:193], s[16:17], v[6:7], v[8:9]
	v_fmac_f64_e32 v[8:9], s[2:3], v[6:7]
	v_fmac_f64_e32 v[192:193], s[0:1], v[4:5]
	;; [unrolled: 1-line block ×3, first 2 shown]
	v_add_f64 v[4:5], v[10:11], v[46:47]
	v_add_f64 v[4:5], v[4:5], v[56:57]
	v_add_f64 v[18:19], v[62:63], -v[60:61]
	v_add_f64 v[20:21], v[64:65], -v[66:67]
	v_add_f64 v[4:5], v[4:5], v[58:59]
	v_add_f64 v[18:19], v[18:19], v[20:21]
	;; [unrolled: 1-line block ×4, first 2 shown]
	v_fmac_f64_e32 v[192:193], s[14:15], v[18:19]
	v_fmac_f64_e32 v[8:9], s[14:15], v[18:19]
	v_fma_f64 v[18:19], -0.5, v[4:5], v[10:11]
	v_add_f64 v[4:5], v[60:61], -v[66:67]
	v_fma_f64 v[202:203], s[16:17], v[4:5], v[18:19]
	v_add_f64 v[6:7], v[62:63], -v[64:65]
	v_add_f64 v[20:21], v[46:47], -v[56:57]
	;; [unrolled: 1-line block ×3, first 2 shown]
	v_fmac_f64_e32 v[18:19], s[2:3], v[4:5]
	v_fmac_f64_e32 v[202:203], s[18:19], v[6:7]
	v_add_f64 v[20:21], v[20:21], v[24:25]
	v_fmac_f64_e32 v[18:19], s[0:1], v[6:7]
	v_fmac_f64_e32 v[202:203], s[14:15], v[20:21]
	v_fmac_f64_e32 v[18:19], s[14:15], v[20:21]
	v_add_f64 v[20:21], v[46:47], v[28:29]
	v_fmac_f64_e32 v[10:11], -0.5, v[20:21]
	v_fma_f64 v[194:195], s[2:3], v[6:7], v[10:11]
	v_fmac_f64_e32 v[10:11], s[16:17], v[6:7]
	v_fmac_f64_e32 v[194:195], s[18:19], v[4:5]
	;; [unrolled: 1-line block ×3, first 2 shown]
	v_add_f64 v[4:5], v[0:1], v[70:71]
	v_add_f64 v[4:5], v[4:5], v[74:75]
	;; [unrolled: 1-line block ×3, first 2 shown]
	v_add_f64 v[20:21], v[56:57], -v[46:47]
	v_add_f64 v[24:25], v[58:59], -v[28:29]
	v_add_f64 v[188:189], v[4:5], v[26:27]
	v_add_f64 v[4:5], v[74:75], v[22:23]
	;; [unrolled: 1-line block ×3, first 2 shown]
	v_fma_f64 v[4:5], -0.5, v[4:5], v[0:1]
	v_add_f64 v[6:7], v[30:31], -v[76:77]
	v_fmac_f64_e32 v[194:195], s[14:15], v[20:21]
	v_fmac_f64_e32 v[10:11], s[14:15], v[20:21]
	v_fma_f64 v[24:25], s[2:3], v[6:7], v[4:5]
	v_add_f64 v[28:29], v[68:69], -v[72:73]
	v_add_f64 v[20:21], v[70:71], -v[74:75]
	v_add_f64 v[32:33], v[26:27], -v[22:23]
	v_fmac_f64_e32 v[4:5], s[16:17], v[6:7]
	v_fmac_f64_e32 v[24:25], s[0:1], v[28:29]
	v_add_f64 v[20:21], v[20:21], v[32:33]
	v_fmac_f64_e32 v[4:5], s[18:19], v[28:29]
	v_fmac_f64_e32 v[24:25], s[14:15], v[20:21]
	v_fmac_f64_e32 v[4:5], s[14:15], v[20:21]
	v_add_f64 v[20:21], v[70:71], v[26:27]
	v_fmac_f64_e32 v[0:1], -0.5, v[20:21]
	v_fma_f64 v[20:21], s[16:17], v[28:29], v[0:1]
	v_fmac_f64_e32 v[0:1], s[2:3], v[28:29]
	v_fmac_f64_e32 v[20:21], s[0:1], v[6:7]
	v_fmac_f64_e32 v[0:1], s[18:19], v[6:7]
	v_add_f64 v[6:7], v[2:3], v[30:31]
	v_add_f64 v[6:7], v[6:7], v[68:69]
	;; [unrolled: 1-line block ×3, first 2 shown]
	v_add_f64 v[32:33], v[74:75], -v[70:71]
	v_add_f64 v[34:35], v[22:23], -v[26:27]
	v_add_f64 v[190:191], v[6:7], v[76:77]
	v_add_f64 v[6:7], v[68:69], v[72:73]
	;; [unrolled: 1-line block ×3, first 2 shown]
	v_fma_f64 v[6:7], -0.5, v[6:7], v[2:3]
	v_add_f64 v[28:29], v[70:71], -v[26:27]
	v_fmac_f64_e32 v[20:21], s[14:15], v[32:33]
	v_fmac_f64_e32 v[0:1], s[14:15], v[32:33]
	v_fma_f64 v[26:27], s[16:17], v[28:29], v[6:7]
	v_add_f64 v[32:33], v[74:75], -v[22:23]
	v_add_f64 v[22:23], v[30:31], -v[68:69]
	;; [unrolled: 1-line block ×3, first 2 shown]
	v_fmac_f64_e32 v[6:7], s[2:3], v[28:29]
	v_fmac_f64_e32 v[26:27], s[18:19], v[32:33]
	v_add_f64 v[22:23], v[22:23], v[34:35]
	v_fmac_f64_e32 v[6:7], s[0:1], v[32:33]
	v_fmac_f64_e32 v[26:27], s[14:15], v[22:23]
	;; [unrolled: 1-line block ×3, first 2 shown]
	v_add_f64 v[22:23], v[30:31], v[76:77]
	v_fmac_f64_e32 v[2:3], -0.5, v[22:23]
	v_fma_f64 v[22:23], s[2:3], v[32:33], v[2:3]
	v_fmac_f64_e32 v[2:3], s[16:17], v[32:33]
	v_fmac_f64_e32 v[22:23], s[18:19], v[28:29]
	;; [unrolled: 1-line block ×3, first 2 shown]
	v_mul_u32_u24_e32 v28, 0x87, v79
	v_add_lshl_u32 v28, v28, v80, 4
	ds_write_b128 v28, v[216:219]
	ds_write_b128 v28, v[208:211] offset:432
	ds_write_b128 v28, v[204:207] offset:864
	;; [unrolled: 1-line block ×3, first 2 shown]
	v_mul_u32_u24_e32 v12, 0x87, v49
	v_add_f64 v[30:31], v[68:69], -v[30:31]
	v_add_f64 v[34:35], v[72:73], -v[76:77]
	v_add_lshl_u32 v49, v12, v78, 4
	v_add_f64 v[30:31], v[30:31], v[34:35]
	ds_write_b128 v28, v[196:199] offset:1728
	ds_write_b128 v49, v[212:215]
	ds_write_b128 v49, v[200:203] offset:432
	ds_write_b128 v49, v[192:195] offset:864
	;; [unrolled: 1-line block ×4, first 2 shown]
	v_mul_u32_u24_e32 v8, 0x87, v45
	v_fmac_f64_e32 v[2:3], s[14:15], v[30:31]
	v_add_lshl_u32 v51, v8, v51, 4
	v_fmac_f64_e32 v[22:23], s[14:15], v[30:31]
	ds_write_b128 v51, v[188:191]
	ds_write_b128 v51, v[24:27] offset:432
	ds_write_b128 v51, v[20:23] offset:864
	;; [unrolled: 1-line block ×4, first 2 shown]
	s_waitcnt lgkmcnt(0)
	; wave barrier
	s_waitcnt lgkmcnt(0)
	ds_read_b128 v[12:15], v48
	ds_read_b128 v[232:235], v48 offset:2160
	ds_read_b128 v[36:39], v48 offset:4320
	;; [unrolled: 1-line block ×13, first 2 shown]
	v_accvgpr_write_b32 a129, v28
                                        ; implicit-def: $vgpr24_vgpr25
                                        ; implicit-def: $vgpr204_vgpr205
                                        ; implicit-def: $vgpr28_vgpr29
                                        ; implicit-def: $vgpr16_vgpr17
                                        ; implicit-def: $vgpr20_vgpr21
	s_and_saveexec_b64 s[0:1], vcc
	s_cbranch_execz .LBB0_3
; %bb.2:
	ds_read_b128 v[4:7], v48 offset:2016
	ds_read_b128 v[24:27], v48 offset:4176
	;; [unrolled: 1-line block ×7, first 2 shown]
.LBB0_3:
	s_or_b64 exec, exec, s[0:1]
	s_movk_i32 s0, 0x60
	v_mov_b64_e32 v[40:41], s[10:11]
	v_mad_u64_u32 v[56:57], s[0:1], v50, s0, v[40:41]
	global_load_dwordx4 v[208:211], v[56:57], off offset:2160
	global_load_dwordx4 v[212:215], v[56:57], off offset:2144
	;; [unrolled: 1-line block ×4, first 2 shown]
	s_mov_b64 s[0:1], 0x17a0
	v_lshl_add_u64 v[70:71], v[56:57], 0, s[0:1]
	v_add_u32_e32 v45, -9, v50
	v_cndmask_b32_e32 v44, v45, v44, vcc
	v_mul_hi_i32_i24_e32 v45, 0x60, v44
	v_mul_i32_i24_e32 v44, 0x60, v44
	v_lshl_add_u64 v[96:97], s[10:11], 0, v[44:45]
	s_mov_b32 s2, 0x37e14327
	s_mov_b32 s0, 0x36b3c0b5
	;; [unrolled: 1-line block ×20, first 2 shown]
	s_waitcnt vmcnt(3) lgkmcnt(9)
	v_mul_f64 v[54:55], v[34:35], v[210:211]
	s_waitcnt vmcnt(2)
	v_mul_f64 v[52:53], v[220:221], v[214:215]
	s_waitcnt vmcnt(1)
	v_mul_f64 v[46:47], v[38:39], v[218:219]
	v_fma_f64 v[46:47], v[36:37], v[216:217], -v[46:47]
	v_mul_f64 v[36:37], v[36:37], v[218:219]
	s_waitcnt vmcnt(0)
	v_mul_f64 v[40:41], v[234:235], v[226:227]
	v_mul_f64 v[42:43], v[232:233], v[226:227]
	v_fmac_f64_e32 v[36:37], v[38:39], v[216:217]
	v_mul_f64 v[38:39], v[222:223], v[214:215]
	v_fma_f64 v[40:41], v[232:233], v[224:225], -v[40:41]
	v_fmac_f64_e32 v[42:43], v[234:235], v[224:225]
	v_fma_f64 v[38:39], v[220:221], v[212:213], -v[38:39]
	v_fmac_f64_e32 v[52:53], v[222:223], v[212:213]
	global_load_dwordx4 v[220:223], v[56:57], off offset:2192
	global_load_dwordx4 v[232:235], v[56:57], off offset:2176
	v_fma_f64 v[54:55], v[32:33], v[208:209], -v[54:55]
	v_mul_f64 v[32:33], v[32:33], v[210:211]
	v_fmac_f64_e32 v[32:33], v[34:35], v[208:209]
	s_waitcnt vmcnt(1) lgkmcnt(7)
	v_mul_f64 v[86:87], v[236:237], v[222:223]
	s_waitcnt vmcnt(0)
	v_mul_f64 v[34:35], v[242:243], v[234:235]
	v_fma_f64 v[80:81], v[240:241], v[232:233], -v[34:35]
	v_mul_f64 v[82:83], v[240:241], v[234:235]
	v_mul_f64 v[34:35], v[238:239], v[222:223]
	v_fmac_f64_e32 v[82:83], v[242:243], v[232:233]
	v_fma_f64 v[84:85], v[236:237], v[220:221], -v[34:35]
	v_fmac_f64_e32 v[86:87], v[238:239], v[220:221]
	global_load_dwordx4 v[236:239], v[70:71], off offset:2160
	global_load_dwordx4 v[240:243], v[70:71], off offset:2144
	;; [unrolled: 1-line block ×4, first 2 shown]
	s_waitcnt vmcnt(3) lgkmcnt(2)
	v_mul_f64 v[66:67], v[2:3], v[238:239]
	v_mul_f64 v[68:69], v[0:1], v[238:239]
	v_fma_f64 v[66:67], v[0:1], v[236:237], -v[66:67]
	s_waitcnt vmcnt(0)
	v_mul_f64 v[34:35], v[250:251], v[254:255]
	v_mul_f64 v[56:57], v[248:249], v[254:255]
	v_fma_f64 v[34:35], v[248:249], v[252:253], -v[34:35]
	v_fmac_f64_e32 v[56:57], v[250:251], v[252:253]
	v_fmac_f64_e32 v[68:69], v[2:3], v[236:237]
	global_load_dwordx4 v[248:251], v[70:71], off offset:2192
	global_load_dwordx4 v[0:3], v[70:71], off offset:2176
	v_mul_f64 v[58:59], v[202:203], v[246:247]
	v_mul_f64 v[60:61], v[200:201], v[246:247]
	;; [unrolled: 1-line block ×4, first 2 shown]
	v_fma_f64 v[58:59], v[200:201], v[244:245], -v[58:59]
	v_fmac_f64_e32 v[60:61], v[202:203], v[244:245]
	v_fma_f64 v[62:63], v[196:197], v[240:241], -v[62:63]
	v_fmac_f64_e32 v[64:65], v[198:199], v[240:241]
	s_waitcnt vmcnt(1) lgkmcnt(0)
	v_mul_f64 v[94:95], v[188:189], v[250:251]
	s_waitcnt vmcnt(0)
	v_mul_f64 v[70:71], v[194:195], v[2:3]
	v_fma_f64 v[88:89], v[192:193], v[0:1], -v[70:71]
	v_mul_f64 v[90:91], v[192:193], v[2:3]
	v_mul_f64 v[70:71], v[190:191], v[250:251]
	v_fmac_f64_e32 v[90:91], v[194:195], v[0:1]
	v_fma_f64 v[92:93], v[188:189], v[248:249], -v[70:71]
	v_fmac_f64_e32 v[94:95], v[190:191], v[248:249]
	global_load_dwordx4 v[188:191], v[96:97], off offset:2160
	global_load_dwordx4 v[192:195], v[96:97], off offset:2144
	;; [unrolled: 1-line block ×4, first 2 shown]
	s_waitcnt vmcnt(3)
	v_mul_f64 v[76:77], v[30:31], v[190:191]
	s_waitcnt vmcnt(2)
	v_mul_f64 v[72:73], v[230:231], v[194:195]
	s_waitcnt vmcnt(1)
	v_mul_f64 v[70:71], v[204:205], v[198:199]
	s_waitcnt vmcnt(0)
	v_mul_f64 v[44:45], v[26:27], v[202:203]
	v_fma_f64 v[44:45], v[24:25], v[200:201], -v[44:45]
	v_mul_f64 v[24:25], v[24:25], v[202:203]
	v_fmac_f64_e32 v[24:25], v[26:27], v[200:201]
	v_mul_f64 v[26:27], v[206:207], v[198:199]
	v_mul_f64 v[74:75], v[228:229], v[194:195]
	v_fma_f64 v[26:27], v[204:205], v[196:197], -v[26:27]
	v_fmac_f64_e32 v[70:71], v[206:207], v[196:197]
	v_fma_f64 v[72:73], v[228:229], v[192:193], -v[72:73]
	v_fmac_f64_e32 v[74:75], v[230:231], v[192:193]
	global_load_dwordx4 v[204:207], v[96:97], off offset:2192
	global_load_dwordx4 v[228:231], v[96:97], off offset:2176
	v_fma_f64 v[76:77], v[28:29], v[188:189], -v[76:77]
	v_mul_f64 v[78:79], v[28:29], v[190:191]
	v_fmac_f64_e32 v[78:79], v[30:31], v[188:189]
	v_add_f64 v[30:31], v[40:41], -v[84:85]
	s_waitcnt vmcnt(0)
	v_mul_f64 v[28:29], v[18:19], v[230:231]
	v_fma_f64 v[96:97], v[16:17], v[228:229], -v[28:29]
	v_mul_f64 v[16:17], v[16:17], v[230:231]
	v_fmac_f64_e32 v[16:17], v[18:19], v[228:229]
	v_mul_f64 v[18:19], v[22:23], v[206:207]
	v_fma_f64 v[18:19], v[20:21], v[204:205], -v[18:19]
	v_mul_f64 v[20:21], v[20:21], v[206:207]
	v_fmac_f64_e32 v[20:21], v[22:23], v[204:205]
	v_add_f64 v[22:23], v[40:41], v[84:85]
	v_add_f64 v[28:29], v[42:43], v[86:87]
	v_add_f64 v[40:41], v[42:43], -v[86:87]
	v_add_f64 v[42:43], v[46:47], v[80:81]
	v_add_f64 v[84:85], v[36:37], v[82:83]
	v_add_f64 v[46:47], v[46:47], -v[80:81]
	v_add_f64 v[36:37], v[36:37], -v[82:83]
	v_add_f64 v[80:81], v[38:39], v[54:55]
	v_add_f64 v[82:83], v[52:53], v[32:33]
	v_add_f64 v[38:39], v[54:55], -v[38:39]
	;; [unrolled: 4-line block ×4, first 2 shown]
	v_add_f64 v[22:23], v[22:23], -v[80:81]
	v_add_f64 v[42:43], v[80:81], -v[42:43]
	v_add_f64 v[54:55], v[82:83], v[54:55]
	v_add_f64 v[80:81], v[28:29], v[30:31]
	;; [unrolled: 1-line block ×3, first 2 shown]
	v_add_f64 v[84:85], v[82:83], -v[84:85]
	v_add_f64 v[102:103], v[32:33], v[36:37]
	v_add_f64 v[104:105], v[38:39], -v[46:47]
	v_add_f64 v[106:107], v[32:33], -v[36:37]
	v_add_f64 v[38:39], v[30:31], -v[38:39]
	v_add_f64 v[46:47], v[46:47], -v[30:31]
	v_add_f64 v[30:31], v[14:15], v[54:55]
	v_mov_b64_e32 v[108:109], v[28:29]
	v_add_f64 v[32:33], v[40:41], -v[32:33]
	v_add_f64 v[36:37], v[36:37], -v[40:41]
	v_add_f64 v[40:41], v[102:103], v[40:41]
	v_mul_f64 v[12:13], v[22:23], s[2:3]
	v_mul_f64 v[14:15], v[100:101], s[2:3]
	;; [unrolled: 1-line block ×6, first 2 shown]
	v_fmac_f64_e32 v[108:109], s[16:17], v[52:53]
	v_mov_b64_e32 v[52:53], v[30:31]
	v_mul_f64 v[104:105], v[46:47], s[10:11]
	v_mul_f64 v[106:107], v[36:37], s[10:11]
	v_fmac_f64_e32 v[52:53], s[16:17], v[54:55]
	v_fma_f64 v[22:23], v[86:87], s[18:19], -v[22:23]
	v_fma_f64 v[54:55], v[98:99], s[18:19], -v[82:83]
	;; [unrolled: 1-line block ×3, first 2 shown]
	v_fmac_f64_e32 v[12:13], s[0:1], v[42:43]
	v_fma_f64 v[42:43], v[98:99], s[20:21], -v[14:15]
	v_fmac_f64_e32 v[14:15], s[0:1], v[84:85]
	v_fma_f64 v[46:47], v[46:47], s[10:11], -v[100:101]
	v_fma_f64 v[84:85], v[36:37], s[10:11], -v[102:103]
	v_fmac_f64_e32 v[102:103], s[22:23], v[32:33]
	v_fmac_f64_e32 v[100:101], s[22:23], v[38:39]
	v_fma_f64 v[86:87], v[38:39], s[26:27], -v[104:105]
	v_fma_f64 v[32:33], v[32:33], s[26:27], -v[106:107]
	v_add_f64 v[12:13], v[12:13], v[108:109]
	v_add_f64 v[22:23], v[22:23], v[108:109]
	;; [unrolled: 1-line block ×3, first 2 shown]
	v_fmac_f64_e32 v[102:103], s[24:25], v[40:41]
	v_fmac_f64_e32 v[46:47], s[24:25], v[80:81]
	;; [unrolled: 1-line block ×3, first 2 shown]
	v_add_f64 v[14:15], v[14:15], v[52:53]
	v_add_f64 v[104:105], v[82:83], v[108:109]
	;; [unrolled: 1-line block ×3, first 2 shown]
	v_fmac_f64_e32 v[100:101], s[24:25], v[80:81]
	v_fmac_f64_e32 v[86:87], s[24:25], v[80:81]
	;; [unrolled: 1-line block ×3, first 2 shown]
	v_add_f64 v[36:37], v[102:103], v[12:13]
	v_add_f64 v[52:53], v[22:23], -v[84:85]
	v_add_f64 v[54:55], v[46:47], v[98:99]
	v_add_f64 v[80:81], v[84:85], v[22:23]
	v_add_f64 v[82:83], v[98:99], -v[46:47]
	v_add_f64 v[98:99], v[12:13], -v[102:103]
	v_add_f64 v[12:13], v[34:35], v[92:93]
	v_add_f64 v[22:23], v[34:35], -v[92:93]
	v_add_f64 v[34:35], v[58:59], v[88:89]
	;; [unrolled: 2-line block ×4, first 2 shown]
	v_add_f64 v[14:15], v[56:57], v[94:95]
	v_add_f64 v[32:33], v[56:57], -v[94:95]
	v_add_f64 v[46:47], v[60:61], v[90:91]
	v_add_f64 v[56:57], v[58:59], -v[88:89]
	v_add_f64 v[58:59], v[60:61], -v[90:91]
	v_add_f64 v[60:61], v[62:63], v[66:67]
	v_add_f64 v[62:63], v[66:67], -v[62:63]
	v_add_f64 v[66:67], v[34:35], v[12:13]
	v_add_f64 v[88:89], v[64:65], v[68:69]
	v_add_f64 v[64:65], v[68:69], -v[64:65]
	v_add_f64 v[68:69], v[46:47], v[14:15]
	v_add_f64 v[90:91], v[34:35], -v[12:13]
	v_add_f64 v[12:13], v[12:13], -v[60:61]
	;; [unrolled: 1-line block ×3, first 2 shown]
	v_add_f64 v[60:61], v[60:61], v[66:67]
	v_add_f64 v[94:95], v[62:63], v[56:57]
	v_add_f64 v[102:103], v[64:65], v[58:59]
	v_add_f64 v[104:105], v[62:63], -v[56:57]
	v_add_f64 v[108:109], v[56:57], -v[22:23]
	v_add_f64 v[66:67], v[88:89], v[68:69]
	v_add_f64 v[56:57], v[8:9], v[60:61]
	v_add_f64 v[42:43], v[106:107], -v[86:87]
	v_add_f64 v[86:87], v[86:87], v[106:107]
	v_add_f64 v[92:93], v[46:47], -v[14:15]
	v_add_f64 v[14:15], v[14:15], -v[88:89]
	;; [unrolled: 1-line block ×6, first 2 shown]
	v_add_f64 v[32:33], v[102:103], v[32:33]
	v_add_f64 v[58:59], v[10:11], v[66:67]
	v_mov_b64_e32 v[102:103], v[56:57]
	v_add_f64 v[62:63], v[22:23], -v[62:63]
	v_add_f64 v[22:23], v[94:95], v[22:23]
	v_mul_f64 v[8:9], v[12:13], s[2:3]
	v_mul_f64 v[10:11], v[14:15], s[2:3]
	v_mul_f64 v[12:13], v[34:35], s[0:1]
	v_mul_f64 v[14:15], v[46:47], s[0:1]
	v_mul_f64 v[68:69], v[104:105], s[14:15]
	v_mul_f64 v[106:107], v[106:107], s[14:15]
	v_mul_f64 v[94:95], v[110:111], s[10:11]
	v_fmac_f64_e32 v[102:103], s[16:17], v[60:61]
	v_mov_b64_e32 v[60:61], v[58:59]
	v_mul_f64 v[88:89], v[108:109], s[10:11]
	v_fmac_f64_e32 v[60:61], s[16:17], v[66:67]
	v_fma_f64 v[12:13], v[90:91], s[18:19], -v[12:13]
	v_fma_f64 v[14:15], v[92:93], s[18:19], -v[14:15]
	;; [unrolled: 1-line block ×3, first 2 shown]
	v_fmac_f64_e32 v[8:9], s[0:1], v[34:35]
	v_fma_f64 v[34:35], v[92:93], s[20:21], -v[10:11]
	v_fmac_f64_e32 v[10:11], s[0:1], v[46:47]
	v_fma_f64 v[46:47], v[108:109], s[10:11], -v[68:69]
	;; [unrolled: 2-line block ×4, first 2 shown]
	v_fma_f64 v[104:105], v[62:63], s[26:27], -v[88:89]
	v_add_f64 v[8:9], v[8:9], v[102:103]
	v_add_f64 v[10:11], v[10:11], v[60:61]
	v_add_f64 v[12:13], v[12:13], v[102:103]
	v_add_f64 v[14:15], v[14:15], v[60:61]
	v_add_f64 v[102:103], v[66:67], v[102:103]
	v_fmac_f64_e32 v[68:69], s[24:25], v[22:23]
	v_fmac_f64_e32 v[106:107], s[24:25], v[32:33]
	;; [unrolled: 1-line block ×5, first 2 shown]
	v_add_f64 v[34:35], v[34:35], v[60:61]
	v_fmac_f64_e32 v[104:105], s[24:25], v[22:23]
	v_add_f64 v[60:61], v[106:107], v[8:9]
	v_add_f64 v[62:63], v[10:11], -v[68:69]
	v_add_f64 v[64:65], v[108:109], v[102:103]
	v_add_f64 v[88:89], v[12:13], -v[92:93]
	v_add_f64 v[90:91], v[46:47], v[14:15]
	v_add_f64 v[92:93], v[92:93], v[12:13]
	v_add_f64 v[94:95], v[14:15], -v[46:47]
	v_add_f64 v[102:103], v[102:103], -v[108:109]
	v_add_f64 v[106:107], v[8:9], -v[106:107]
	v_add_f64 v[108:109], v[68:69], v[10:11]
	v_add_f64 v[8:9], v[44:45], v[18:19]
	;; [unrolled: 1-line block ×3, first 2 shown]
	v_add_f64 v[12:13], v[44:45], -v[18:19]
	v_add_f64 v[14:15], v[24:25], -v[20:21]
	v_add_f64 v[18:19], v[26:27], v[96:97]
	v_add_f64 v[20:21], v[70:71], v[16:17]
	v_add_f64 v[66:67], v[34:35], -v[104:105]
	v_add_f64 v[104:105], v[104:105], v[34:35]
	v_add_f64 v[22:23], v[26:27], -v[96:97]
	v_add_f64 v[16:17], v[70:71], -v[16:17]
	v_add_f64 v[24:25], v[72:73], v[76:77]
	v_add_f64 v[26:27], v[74:75], v[78:79]
	v_add_f64 v[32:33], v[76:77], -v[72:73]
	v_add_f64 v[34:35], v[78:79], -v[74:75]
	v_add_f64 v[44:45], v[18:19], v[8:9]
	v_add_f64 v[46:47], v[20:21], v[10:11]
	v_add_f64 v[68:69], v[18:19], -v[8:9]
	v_add_f64 v[70:71], v[20:21], -v[10:11]
	;; [unrolled: 1-line block ×6, first 2 shown]
	v_add_f64 v[72:73], v[32:33], v[22:23]
	v_add_f64 v[74:75], v[34:35], v[16:17]
	v_add_f64 v[76:77], v[32:33], -v[22:23]
	v_add_f64 v[78:79], v[34:35], -v[16:17]
	v_add_f64 v[22:23], v[22:23], -v[12:13]
	v_add_f64 v[16:17], v[16:17], -v[14:15]
	v_add_f64 v[24:25], v[24:25], v[44:45]
	v_add_f64 v[26:27], v[26:27], v[46:47]
	v_add_f64 v[96:97], v[12:13], -v[32:33]
	v_add_f64 v[110:111], v[14:15], -v[34:35]
	v_add_f64 v[12:13], v[72:73], v[12:13]
	v_add_f64 v[14:15], v[74:75], v[14:15]
	;; [unrolled: 1-line block ×4, first 2 shown]
	v_mul_f64 v[4:5], v[8:9], s[2:3]
	v_mul_f64 v[6:7], v[10:11], s[2:3]
	v_mul_f64 v[8:9], v[18:19], s[0:1]
	v_mul_f64 v[10:11], v[20:21], s[0:1]
	v_mul_f64 v[44:45], v[76:77], s[14:15]
	v_mul_f64 v[46:47], v[78:79], s[14:15]
	v_mul_f64 v[72:73], v[22:23], s[10:11]
	v_mul_f64 v[74:75], v[16:17], s[10:11]
	v_fma_f64 v[24:25], s[16:17], v[24:25], v[32:33]
	v_fma_f64 v[26:27], s[16:17], v[26:27], v[34:35]
	;; [unrolled: 1-line block ×3, first 2 shown]
	v_fma_f64 v[8:9], v[68:69], s[18:19], -v[8:9]
	v_fma_f64 v[10:11], v[70:71], s[18:19], -v[10:11]
	v_fma_f64 v[4:5], v[68:69], s[20:21], -v[4:5]
	v_fma_f64 v[68:69], v[70:71], s[20:21], -v[6:7]
	v_fmac_f64_e32 v[6:7], s[0:1], v[20:21]
	v_fma_f64 v[70:71], s[22:23], v[96:97], v[44:45]
	v_fma_f64 v[20:21], v[22:23], s[10:11], -v[44:45]
	v_fma_f64 v[16:17], v[16:17], s[10:11], -v[46:47]
	v_fmac_f64_e32 v[46:47], s[22:23], v[110:111]
	v_fma_f64 v[22:23], v[96:97], s[26:27], -v[72:73]
	v_fma_f64 v[44:45], v[110:111], s[26:27], -v[74:75]
	v_add_f64 v[72:73], v[18:19], v[24:25]
	v_add_f64 v[74:75], v[6:7], v[26:27]
	;; [unrolled: 1-line block ×6, first 2 shown]
	v_fmac_f64_e32 v[70:71], s[24:25], v[12:13]
	v_fmac_f64_e32 v[46:47], s[24:25], v[14:15]
	;; [unrolled: 1-line block ×6, first 2 shown]
	v_add_f64 v[4:5], v[46:47], v[72:73]
	v_add_f64 v[6:7], v[74:75], -v[70:71]
	v_add_f64 v[8:9], v[44:45], v[24:25]
	v_add_f64 v[10:11], v[26:27], -v[22:23]
	v_add_f64 v[12:13], v[18:19], -v[16:17]
	v_add_f64 v[14:15], v[20:21], v[76:77]
	v_add_f64 v[16:17], v[16:17], v[18:19]
	v_add_f64 v[18:19], v[76:77], -v[20:21]
	v_add_f64 v[20:21], v[24:25], -v[44:45]
	v_add_f64 v[22:23], v[22:23], v[26:27]
	v_add_f64 v[24:25], v[72:73], -v[46:47]
	v_add_f64 v[26:27], v[70:71], v[74:75]
	ds_write_b128 v48, v[28:31]
	ds_write_b128 v48, v[36:39] offset:2160
	ds_write_b128 v48, v[40:43] offset:4320
	ds_write_b128 v48, v[52:55] offset:6480
	ds_write_b128 v48, v[80:83] offset:8640
	ds_write_b128 v48, v[84:87] offset:10800
	ds_write_b128 v48, v[98:101] offset:12960
	ds_write_b128 v48, v[56:59] offset:1008
	ds_write_b128 v48, v[60:63] offset:3168
	ds_write_b128 v48, v[64:67] offset:5328
	ds_write_b128 v48, v[88:91] offset:7488
	ds_write_b128 v48, v[92:95] offset:9648
	ds_write_b128 v48, v[102:105] offset:11808
	ds_write_b128 v48, v[106:109] offset:13968
	s_and_saveexec_b64 s[0:1], vcc
	s_cbranch_execz .LBB0_5
; %bb.4:
	ds_write_b128 v48, v[32:35] offset:2016
	ds_write_b128 v48, v[4:7] offset:4176
	;; [unrolled: 1-line block ×7, first 2 shown]
.LBB0_5:
	s_or_b64 exec, exec, s[0:1]
	v_lshlrev_b32_e32 v28, 4, v50
	v_mov_b32_e32 v29, 0
	v_lshl_add_u64 v[32:33], s[8:9], 0, v[28:29]
	s_mov_b64 s[0:1], 0x3b10
	v_lshl_add_u64 v[28:29], v[32:33], 0, s[0:1]
	s_movk_i32 s0, 0x3000
	v_add_co_u32_e64 v30, s[0:1], s0, v32
	s_waitcnt lgkmcnt(0)
	s_nop 0
	v_addc_co_u32_e64 v31, s[0:1], 0, v33, s[0:1]
	; wave barrier
	global_load_dwordx4 v[38:41], v[30:31], off offset:2832
	ds_read_b128 v[34:37], v48
	s_movk_i32 s0, 0x4000
	s_mov_b32 s3, 0x3febb67a
	s_mov_b32 s11, 0x3fee6f0e
	;; [unrolled: 1-line block ×5, first 2 shown]
	s_waitcnt vmcnt(0) lgkmcnt(0)
	v_mul_f64 v[30:31], v[36:37], v[40:41]
	v_fma_f64 v[42:43], v[34:35], v[38:39], -v[30:31]
	v_add_co_u32_e64 v30, s[0:1], s0, v32
	v_mul_f64 v[44:45], v[34:35], v[40:41]
	s_nop 0
	v_addc_co_u32_e64 v31, s[0:1], 0, v33, s[0:1]
	v_fmac_f64_e32 v[44:45], v[36:37], v[38:39]
	global_load_dwordx4 v[38:41], v[30:31], off offset:3776
	ds_read_b128 v[34:37], v48 offset:5040
	s_movk_i32 s0, 0x6000
	ds_write_b128 v48, v[42:45]
	s_waitcnt vmcnt(0) lgkmcnt(1)
	v_mul_f64 v[30:31], v[36:37], v[40:41]
	v_fma_f64 v[42:43], v[34:35], v[38:39], -v[30:31]
	v_add_co_u32_e64 v30, s[0:1], s0, v32
	v_mul_f64 v[44:45], v[34:35], v[40:41]
	s_nop 0
	v_addc_co_u32_e64 v31, s[0:1], 0, v33, s[0:1]
	v_fmac_f64_e32 v[44:45], v[36:37], v[38:39]
	global_load_dwordx4 v[38:41], v[30:31], off offset:624
	ds_read_b128 v[34:37], v48 offset:10080
	ds_write_b128 v48, v[42:45] offset:5040
	s_movk_i32 s0, 0x5000
	s_waitcnt vmcnt(0) lgkmcnt(1)
	v_mul_f64 v[42:43], v[36:37], v[40:41]
	v_mul_f64 v[44:45], v[34:35], v[40:41]
	v_fma_f64 v[42:43], v[34:35], v[38:39], -v[42:43]
	v_fmac_f64_e32 v[44:45], v[36:37], v[38:39]
	global_load_dwordx4 v[38:41], v[28:29], off offset:1008
	ds_read_b128 v[34:37], v48 offset:1008
	ds_write_b128 v48, v[42:45] offset:10080
	s_waitcnt vmcnt(0) lgkmcnt(1)
	v_mul_f64 v[42:43], v[36:37], v[40:41]
	v_fma_f64 v[42:43], v[34:35], v[38:39], -v[42:43]
	v_mul_f64 v[44:45], v[34:35], v[40:41]
	v_add_co_u32_e64 v34, s[0:1], s0, v32
	v_fmac_f64_e32 v[44:45], v[36:37], v[38:39]
	s_nop 0
	v_addc_co_u32_e64 v35, s[0:1], 0, v33, s[0:1]
	ds_write_b128 v48, v[42:45] offset:1008
	global_load_dwordx4 v[40:43], v[34:35], off offset:688
	ds_read_b128 v[36:39], v48 offset:6048
	s_movk_i32 s0, 0x7000
	v_add_co_u32_e64 v32, s[0:1], s0, v32
	s_waitcnt vmcnt(0) lgkmcnt(0)
	v_mul_f64 v[44:45], v[38:39], v[42:43]
	v_mul_f64 v[46:47], v[36:37], v[42:43]
	v_fma_f64 v[44:45], v[36:37], v[40:41], -v[44:45]
	v_fmac_f64_e32 v[46:47], v[38:39], v[40:41]
	global_load_dwordx4 v[40:43], v[30:31], off offset:1632
	ds_read_b128 v[36:39], v48 offset:11088
	ds_write_b128 v48, v[44:47] offset:6048
	v_addc_co_u32_e64 v33, s[0:1], 0, v33, s[0:1]
	s_mov_b32 s0, 0xe8584caa
	s_mov_b32 s1, 0xbfebb67a
	;; [unrolled: 1-line block ×3, first 2 shown]
	s_waitcnt vmcnt(0) lgkmcnt(1)
	v_mul_f64 v[44:45], v[38:39], v[42:43]
	v_mul_f64 v[46:47], v[36:37], v[42:43]
	v_fma_f64 v[44:45], v[36:37], v[40:41], -v[44:45]
	v_fmac_f64_e32 v[46:47], v[38:39], v[40:41]
	global_load_dwordx4 v[40:43], v[28:29], off offset:2016
	ds_read_b128 v[36:39], v48 offset:2016
	ds_write_b128 v48, v[44:47] offset:11088
	s_waitcnt vmcnt(0) lgkmcnt(1)
	v_mul_f64 v[44:45], v[38:39], v[42:43]
	v_mul_f64 v[46:47], v[36:37], v[42:43]
	v_fma_f64 v[44:45], v[36:37], v[40:41], -v[44:45]
	v_fmac_f64_e32 v[46:47], v[38:39], v[40:41]
	global_load_dwordx4 v[40:43], v[34:35], off offset:1696
	ds_read_b128 v[36:39], v48 offset:7056
	ds_write_b128 v48, v[44:47] offset:2016
	;; [unrolled: 8-line block ×6, first 2 shown]
	s_waitcnt vmcnt(0) lgkmcnt(1)
	v_mul_f64 v[30:31], v[38:39], v[42:43]
	v_fma_f64 v[44:45], v[36:37], v[40:41], -v[30:31]
	global_load_dwordx4 v[28:31], v[28:29], off offset:4032
	v_mul_f64 v[46:47], v[36:37], v[42:43]
	v_fmac_f64_e32 v[46:47], v[38:39], v[40:41]
	ds_read_b128 v[36:39], v48 offset:4032
	ds_write_b128 v48, v[44:47] offset:13104
	s_waitcnt vmcnt(0) lgkmcnt(1)
	v_mul_f64 v[40:41], v[38:39], v[30:31]
	v_fma_f64 v[40:41], v[36:37], v[28:29], -v[40:41]
	v_mul_f64 v[42:43], v[36:37], v[30:31]
	global_load_dwordx4 v[34:37], v[34:35], off offset:3712
	v_fmac_f64_e32 v[42:43], v[38:39], v[28:29]
	ds_read_b128 v[28:31], v48 offset:9072
	ds_write_b128 v48, v[40:43] offset:4032
	s_waitcnt vmcnt(0) lgkmcnt(1)
	v_mul_f64 v[38:39], v[30:31], v[36:37]
	v_mul_f64 v[40:41], v[28:29], v[36:37]
	v_fma_f64 v[38:39], v[28:29], v[34:35], -v[38:39]
	v_fmac_f64_e32 v[40:41], v[30:31], v[34:35]
	global_load_dwordx4 v[32:35], v[32:33], off offset:560
	ds_read_b128 v[28:31], v48 offset:14112
	ds_write_b128 v48, v[38:41] offset:9072
	s_waitcnt vmcnt(0) lgkmcnt(1)
	v_mul_f64 v[36:37], v[30:31], v[34:35]
	v_mul_f64 v[38:39], v[28:29], v[34:35]
	v_fma_f64 v[36:37], v[28:29], v[32:33], -v[36:37]
	v_fmac_f64_e32 v[38:39], v[30:31], v[32:33]
	ds_write_b128 v48, v[36:39] offset:14112
	s_waitcnt lgkmcnt(0)
	; wave barrier
	s_waitcnt lgkmcnt(0)
	ds_read_b128 v[28:31], v48
	ds_read_b128 v[52:55], v48 offset:5040
	ds_read_b128 v[56:59], v48 offset:10080
	;; [unrolled: 1-line block ×14, first 2 shown]
	s_waitcnt lgkmcnt(12)
	v_add_f64 v[94:95], v[52:53], v[56:57]
	v_add_f64 v[92:93], v[28:29], v[52:53]
	v_fmac_f64_e32 v[28:29], -0.5, v[94:95]
	v_add_f64 v[94:95], v[54:55], -v[58:59]
	v_fma_f64 v[96:97], s[0:1], v[94:95], v[28:29]
	v_fmac_f64_e32 v[28:29], s[2:3], v[94:95]
	v_add_f64 v[94:95], v[30:31], v[54:55]
	v_add_f64 v[54:55], v[54:55], v[58:59]
	v_fmac_f64_e32 v[30:31], -0.5, v[54:55]
	v_add_f64 v[52:53], v[52:53], -v[56:57]
	s_waitcnt lgkmcnt(9)
	v_add_f64 v[54:55], v[60:61], v[64:65]
	v_add_f64 v[94:95], v[94:95], v[58:59]
	v_fma_f64 v[98:99], s[2:3], v[52:53], v[30:31]
	v_fmac_f64_e32 v[30:31], s[0:1], v[52:53]
	v_add_f64 v[52:53], v[32:33], v[60:61]
	v_fmac_f64_e32 v[32:33], -0.5, v[54:55]
	v_add_f64 v[54:55], v[62:63], -v[66:67]
	v_add_f64 v[58:59], v[62:63], v[66:67]
	v_add_f64 v[92:93], v[92:93], v[56:57]
	v_fma_f64 v[56:57], s[0:1], v[54:55], v[32:33]
	v_fmac_f64_e32 v[32:33], s[2:3], v[54:55]
	v_add_f64 v[54:55], v[34:35], v[62:63]
	v_fmac_f64_e32 v[34:35], -0.5, v[58:59]
	v_add_f64 v[60:61], v[60:61], -v[64:65]
	s_waitcnt lgkmcnt(6)
	v_add_f64 v[62:63], v[68:69], v[72:73]
	v_add_f64 v[54:55], v[54:55], v[66:67]
	v_fma_f64 v[58:59], s[2:3], v[60:61], v[34:35]
	v_fmac_f64_e32 v[34:35], s[0:1], v[60:61]
	v_add_f64 v[60:61], v[36:37], v[68:69]
	v_fmac_f64_e32 v[36:37], -0.5, v[62:63]
	v_add_f64 v[62:63], v[70:71], -v[74:75]
	v_add_f64 v[66:67], v[70:71], v[74:75]
	v_add_f64 v[52:53], v[52:53], v[64:65]
	v_fma_f64 v[64:65], s[0:1], v[62:63], v[36:37]
	v_fmac_f64_e32 v[36:37], s[2:3], v[62:63]
	;; [unrolled: 15-line block ×4, first 2 shown]
	v_add_f64 v[78:79], v[46:47], v[86:87]
	v_fmac_f64_e32 v[46:47], -0.5, v[82:83]
	v_add_f64 v[84:85], v[84:85], -v[88:89]
	v_add_f64 v[76:77], v[76:77], v[88:89]
	v_add_f64 v[78:79], v[78:79], v[90:91]
	v_fma_f64 v[82:83], s[2:3], v[84:85], v[46:47]
	v_fmac_f64_e32 v[46:47], s[0:1], v[84:85]
	s_waitcnt lgkmcnt(0)
	; wave barrier
	ds_write_b128 v112, v[92:95]
	ds_write_b128 v112, v[96:99] offset:16
	ds_write_b128 v112, v[28:31] offset:32
	ds_write_b128 v113, v[52:55]
	ds_write_b128 v113, v[56:59] offset:16
	ds_write_b128 v113, v[32:35] offset:32
	;; [unrolled: 3-line block ×5, first 2 shown]
	v_accvgpr_read_b32 v97, a63
	v_accvgpr_read_b32 v96, a62
	s_waitcnt lgkmcnt(0)
	; wave barrier
	s_waitcnt lgkmcnt(0)
	ds_read_b128 v[28:31], v48
	ds_read_b128 v[52:55], v48 offset:5040
	ds_read_b128 v[56:59], v48 offset:10080
	;; [unrolled: 1-line block ×14, first 2 shown]
	v_accvgpr_read_b32 v95, a61
	v_accvgpr_read_b32 v94, a60
	s_waitcnt lgkmcnt(13)
	v_mul_f64 v[92:93], v[96:97], v[54:55]
	v_fmac_f64_e32 v[92:93], v[94:95], v[52:53]
	v_mul_f64 v[52:53], v[96:97], v[52:53]
	s_waitcnt lgkmcnt(12)
	v_mul_f64 v[96:97], v[120:121], v[58:59]
	v_fma_f64 v[94:95], v[94:95], v[54:55], -v[52:53]
	v_fmac_f64_e32 v[96:97], v[118:119], v[56:57]
	v_mul_f64 v[52:53], v[120:121], v[56:57]
	v_accvgpr_read_b32 v54, a68
	v_accvgpr_read_b32 v56, a70
	;; [unrolled: 1-line block ×3, first 2 shown]
	v_fma_f64 v[58:59], v[118:119], v[58:59], -v[52:53]
	v_accvgpr_read_b32 v55, a69
	s_waitcnt lgkmcnt(10)
	v_mul_f64 v[98:99], v[56:57], v[62:63]
	v_mul_f64 v[52:53], v[56:57], v[60:61]
	v_fmac_f64_e32 v[98:99], v[54:55], v[60:61]
	v_fma_f64 v[100:101], v[54:55], v[62:63], -v[52:53]
	v_accvgpr_read_b32 v54, a64
	v_accvgpr_read_b32 v56, a66
	v_accvgpr_read_b32 v57, a67
	v_accvgpr_read_b32 v55, a65
	s_waitcnt lgkmcnt(9)
	v_mul_f64 v[102:103], v[56:57], v[66:67]
	v_mul_f64 v[52:53], v[56:57], v[64:65]
	v_fmac_f64_e32 v[102:103], v[54:55], v[64:65]
	v_fma_f64 v[66:67], v[54:55], v[66:67], -v[52:53]
	v_accvgpr_read_b32 v54, a76
	v_accvgpr_read_b32 v56, a78
	v_accvgpr_read_b32 v57, a79
	;; [unrolled: 9-line block ×7, first 2 shown]
	v_accvgpr_read_b32 v55, a89
	s_waitcnt lgkmcnt(0)
	v_mul_f64 v[120:121], v[56:57], v[90:91]
	v_mul_f64 v[52:53], v[56:57], v[88:89]
	v_fmac_f64_e32 v[120:121], v[54:55], v[88:89]
	v_fma_f64 v[90:91], v[54:55], v[90:91], -v[52:53]
	v_add_f64 v[54:55], v[92:93], v[96:97]
	v_add_f64 v[52:53], v[28:29], v[92:93]
	v_fmac_f64_e32 v[28:29], -0.5, v[54:55]
	v_add_f64 v[54:55], v[94:95], -v[58:59]
	v_fma_f64 v[56:57], s[0:1], v[54:55], v[28:29]
	v_fmac_f64_e32 v[28:29], s[2:3], v[54:55]
	v_add_f64 v[54:55], v[30:31], v[94:95]
	v_add_f64 v[54:55], v[54:55], v[58:59]
	v_add_f64 v[58:59], v[94:95], v[58:59]
	v_fmac_f64_e32 v[30:31], -0.5, v[58:59]
	v_add_f64 v[60:61], v[92:93], -v[96:97]
	v_add_f64 v[62:63], v[98:99], v[102:103]
	v_fma_f64 v[58:59], s[2:3], v[60:61], v[30:31]
	v_fmac_f64_e32 v[30:31], s[0:1], v[60:61]
	v_add_f64 v[60:61], v[32:33], v[98:99]
	v_fmac_f64_e32 v[32:33], -0.5, v[62:63]
	v_add_f64 v[62:63], v[100:101], -v[66:67]
	v_fma_f64 v[64:65], s[0:1], v[62:63], v[32:33]
	v_fmac_f64_e32 v[32:33], s[2:3], v[62:63]
	v_add_f64 v[62:63], v[34:35], v[100:101]
	v_add_f64 v[62:63], v[62:63], v[66:67]
	v_add_f64 v[66:67], v[100:101], v[66:67]
	v_fmac_f64_e32 v[34:35], -0.5, v[66:67]
	v_add_f64 v[68:69], v[98:99], -v[102:103]
	v_add_f64 v[70:71], v[104:105], v[108:109]
	v_fma_f64 v[66:67], s[2:3], v[68:69], v[34:35]
	v_fmac_f64_e32 v[34:35], s[0:1], v[68:69]
	;; [unrolled: 13-line block ×5, first 2 shown]
	v_accvgpr_read_b32 v92, a96
	v_add_f64 v[60:61], v[60:61], v[102:103]
	s_waitcnt lgkmcnt(0)
	; wave barrier
	ds_write_b128 v92, v[52:55]
	ds_write_b128 v92, v[56:59] offset:48
	ds_write_b128 v92, v[28:31] offset:96
	v_accvgpr_read_b32 v28, a97
	v_add_f64 v[68:69], v[68:69], v[108:109]
	ds_write_b128 v28, v[60:63]
	ds_write_b128 v28, v[64:67] offset:48
	ds_write_b128 v28, v[32:35] offset:96
	v_accvgpr_read_b32 v28, a98
	v_add_f64 v[76:77], v[76:77], v[114:115]
	ds_write_b128 v28, v[68:71]
	ds_write_b128 v28, v[72:75] offset:48
	ds_write_b128 v28, v[36:39] offset:96
	v_accvgpr_read_b32 v28, a99
	v_accvgpr_read_b32 v94, a106
	v_add_f64 v[84:85], v[84:85], v[120:121]
	ds_write_b128 v28, v[76:79]
	ds_write_b128 v28, v[80:83] offset:48
	ds_write_b128 v28, v[40:43] offset:96
	v_accvgpr_read_b32 v28, a100
	v_accvgpr_read_b32 v96, a108
	;; [unrolled: 1-line block ×3, first 2 shown]
	ds_write_b128 v28, v[84:87]
	ds_write_b128 v28, v[88:91] offset:48
	ds_write_b128 v28, v[44:47] offset:96
	s_waitcnt lgkmcnt(0)
	; wave barrier
	s_waitcnt lgkmcnt(0)
	ds_read_b128 v[28:31], v48
	ds_read_b128 v[44:47], v48 offset:5040
	ds_read_b128 v[52:55], v48 offset:10080
	;; [unrolled: 1-line block ×14, first 2 shown]
	v_accvgpr_read_b32 v95, a107
	s_waitcnt lgkmcnt(13)
	v_mul_f64 v[92:93], v[96:97], v[46:47]
	v_accvgpr_read_b32 v98, a102
	v_fmac_f64_e32 v[92:93], v[94:95], v[44:45]
	v_mul_f64 v[44:45], v[96:97], v[44:45]
	v_accvgpr_read_b32 v100, a104
	v_accvgpr_read_b32 v101, a105
	v_fma_f64 v[94:95], v[94:95], v[46:47], -v[44:45]
	s_waitcnt lgkmcnt(12)
	v_mul_f64 v[96:97], v[100:101], v[54:55]
	v_mul_f64 v[44:45], v[100:101], v[52:53]
	v_accvgpr_read_b32 v100, a114
	v_accvgpr_read_b32 v99, a103
	;; [unrolled: 1-line block ×4, first 2 shown]
	v_fmac_f64_e32 v[96:97], v[98:99], v[52:53]
	v_fma_f64 v[54:55], v[98:99], v[54:55], -v[44:45]
	v_accvgpr_read_b32 v101, a115
	s_waitcnt lgkmcnt(10)
	v_mul_f64 v[98:99], v[102:103], v[58:59]
	v_mul_f64 v[44:45], v[102:103], v[56:57]
	v_fmac_f64_e32 v[98:99], v[100:101], v[56:57]
	v_fma_f64 v[100:101], v[100:101], v[58:59], -v[44:45]
	v_accvgpr_read_b32 v56, a110
	v_accvgpr_read_b32 v58, a112
	v_accvgpr_read_b32 v59, a113
	v_accvgpr_read_b32 v57, a111
	s_waitcnt lgkmcnt(9)
	v_mul_f64 v[102:103], v[58:59], v[66:67]
	v_mul_f64 v[44:45], v[58:59], v[64:65]
	v_fmac_f64_e32 v[102:103], v[56:57], v[64:65]
	v_fma_f64 v[66:67], v[56:57], v[66:67], -v[44:45]
	v_accvgpr_read_b32 v56, a122
	v_accvgpr_read_b32 v58, a124
	v_accvgpr_read_b32 v59, a125
	;; [unrolled: 9-line block ×3, first 2 shown]
	v_accvgpr_read_b32 v57, a119
	s_waitcnt lgkmcnt(6)
	v_mul_f64 v[44:45], v[58:59], v[72:73]
	v_mul_f64 v[108:109], v[58:59], v[74:75]
	v_fma_f64 v[74:75], v[56:57], v[74:75], -v[44:45]
	s_waitcnt lgkmcnt(4)
	v_mul_f64 v[44:45], v[130:131], v[76:77]
	v_fma_f64 v[112:113], v[128:129], v[78:79], -v[44:45]
	s_waitcnt lgkmcnt(3)
	v_mul_f64 v[44:45], v[126:127], v[80:81]
	v_mul_f64 v[114:115], v[126:127], v[82:83]
	v_fma_f64 v[82:83], v[124:125], v[82:83], -v[44:45]
	s_waitcnt lgkmcnt(1)
	v_mul_f64 v[44:45], v[138:139], v[84:85]
	v_fma_f64 v[118:119], v[136:137], v[86:87], -v[44:45]
	s_waitcnt lgkmcnt(0)
	v_mul_f64 v[44:45], v[134:135], v[88:89]
	v_add_f64 v[46:47], v[92:93], v[96:97]
	v_mul_f64 v[120:121], v[134:135], v[90:91]
	v_fma_f64 v[90:91], v[132:133], v[90:91], -v[44:45]
	v_add_f64 v[44:45], v[28:29], v[92:93]
	v_fmac_f64_e32 v[28:29], -0.5, v[46:47]
	v_add_f64 v[46:47], v[94:95], -v[54:55]
	v_fma_f64 v[52:53], s[0:1], v[46:47], v[28:29]
	v_fmac_f64_e32 v[28:29], s[2:3], v[46:47]
	v_add_f64 v[46:47], v[30:31], v[94:95]
	v_add_f64 v[46:47], v[46:47], v[54:55]
	;; [unrolled: 1-line block ×3, first 2 shown]
	v_fmac_f64_e32 v[108:109], v[56:57], v[72:73]
	v_fmac_f64_e32 v[30:31], -0.5, v[54:55]
	v_add_f64 v[56:57], v[92:93], -v[96:97]
	v_add_f64 v[58:59], v[98:99], v[102:103]
	v_fma_f64 v[54:55], s[2:3], v[56:57], v[30:31]
	v_fmac_f64_e32 v[30:31], s[0:1], v[56:57]
	v_add_f64 v[56:57], v[60:61], v[98:99]
	v_fmac_f64_e32 v[60:61], -0.5, v[58:59]
	v_add_f64 v[58:59], v[100:101], -v[66:67]
	v_fma_f64 v[64:65], s[0:1], v[58:59], v[60:61]
	v_fmac_f64_e32 v[60:61], s[2:3], v[58:59]
	v_add_f64 v[58:59], v[62:63], v[100:101]
	v_add_f64 v[58:59], v[58:59], v[66:67]
	;; [unrolled: 1-line block ×3, first 2 shown]
	v_fmac_f64_e32 v[62:63], -0.5, v[66:67]
	v_add_f64 v[68:69], v[98:99], -v[102:103]
	v_add_f64 v[70:71], v[104:105], v[108:109]
	v_fma_f64 v[66:67], s[2:3], v[68:69], v[62:63]
	v_fmac_f64_e32 v[62:63], s[0:1], v[68:69]
	v_add_f64 v[68:69], v[32:33], v[104:105]
	v_fmac_f64_e32 v[32:33], -0.5, v[70:71]
	v_add_f64 v[70:71], v[106:107], -v[74:75]
	v_mul_f64 v[110:111], v[130:131], v[78:79]
	v_fma_f64 v[72:73], s[0:1], v[70:71], v[32:33]
	v_fmac_f64_e32 v[32:33], s[2:3], v[70:71]
	v_add_f64 v[70:71], v[34:35], v[106:107]
	v_fmac_f64_e32 v[110:111], v[128:129], v[76:77]
	v_fmac_f64_e32 v[114:115], v[124:125], v[80:81]
	v_add_f64 v[70:71], v[70:71], v[74:75]
	v_add_f64 v[74:75], v[106:107], v[74:75]
	v_fmac_f64_e32 v[34:35], -0.5, v[74:75]
	v_add_f64 v[76:77], v[104:105], -v[108:109]
	v_add_f64 v[78:79], v[110:111], v[114:115]
	v_fma_f64 v[74:75], s[2:3], v[76:77], v[34:35]
	v_fmac_f64_e32 v[34:35], s[0:1], v[76:77]
	v_add_f64 v[76:77], v[36:37], v[110:111]
	v_fmac_f64_e32 v[36:37], -0.5, v[78:79]
	v_add_f64 v[78:79], v[112:113], -v[82:83]
	v_mul_f64 v[116:117], v[138:139], v[86:87]
	v_fma_f64 v[80:81], s[0:1], v[78:79], v[36:37]
	v_fmac_f64_e32 v[36:37], s[2:3], v[78:79]
	v_add_f64 v[78:79], v[38:39], v[112:113]
	v_fmac_f64_e32 v[116:117], v[136:137], v[84:85]
	v_fmac_f64_e32 v[120:121], v[132:133], v[88:89]
	v_add_f64 v[78:79], v[78:79], v[82:83]
	v_add_f64 v[82:83], v[112:113], v[82:83]
	v_fmac_f64_e32 v[38:39], -0.5, v[82:83]
	v_add_f64 v[84:85], v[110:111], -v[114:115]
	v_add_f64 v[86:87], v[116:117], v[120:121]
	v_add_f64 v[44:45], v[44:45], v[96:97]
	v_fma_f64 v[82:83], s[2:3], v[84:85], v[38:39]
	v_fmac_f64_e32 v[38:39], s[0:1], v[84:85]
	v_add_f64 v[84:85], v[40:41], v[116:117]
	v_fmac_f64_e32 v[40:41], -0.5, v[86:87]
	v_add_f64 v[86:87], v[118:119], -v[90:91]
	v_add_f64 v[56:57], v[56:57], v[102:103]
	v_fma_f64 v[88:89], s[0:1], v[86:87], v[40:41]
	v_fmac_f64_e32 v[40:41], s[2:3], v[86:87]
	v_add_f64 v[86:87], v[42:43], v[118:119]
	s_waitcnt lgkmcnt(0)
	; wave barrier
	ds_write_b128 v123, v[44:47]
	ds_write_b128 v123, v[52:55] offset:144
	ds_write_b128 v123, v[28:31] offset:288
	v_accvgpr_read_b32 v28, a101
	v_add_f64 v[68:69], v[68:69], v[108:109]
	v_add_f64 v[86:87], v[86:87], v[90:91]
	;; [unrolled: 1-line block ×3, first 2 shown]
	ds_write_b128 v28, v[56:59]
	ds_write_b128 v28, v[64:67] offset:144
	ds_write_b128 v28, v[60:63] offset:288
	v_accvgpr_read_b32 v28, a126
	v_add_f64 v[76:77], v[76:77], v[114:115]
	v_fmac_f64_e32 v[42:43], -0.5, v[90:91]
	v_add_f64 v[92:93], v[116:117], -v[120:121]
	ds_write_b128 v28, v[68:71]
	ds_write_b128 v28, v[72:75] offset:144
	ds_write_b128 v28, v[32:35] offset:288
	v_accvgpr_read_b32 v28, a127
	v_add_f64 v[84:85], v[84:85], v[120:121]
	v_fma_f64 v[90:91], s[2:3], v[92:93], v[42:43]
	v_fmac_f64_e32 v[42:43], s[0:1], v[92:93]
	ds_write_b128 v28, v[76:79]
	ds_write_b128 v28, v[80:83] offset:144
	ds_write_b128 v28, v[36:39] offset:288
	v_accvgpr_read_b32 v28, a128
	ds_write_b128 v28, v[84:87]
	ds_write_b128 v28, v[88:91] offset:144
	ds_write_b128 v28, v[40:43] offset:288
	s_waitcnt lgkmcnt(0)
	; wave barrier
	s_waitcnt lgkmcnt(0)
	ds_read_b128 v[28:31], v48
	ds_read_b128 v[32:35], v48 offset:3024
	ds_read_b128 v[36:39], v48 offset:6048
	;; [unrolled: 1-line block ×14, first 2 shown]
	s_waitcnt lgkmcnt(13)
	v_mul_f64 v[92:93], v[154:155], v[34:35]
	v_fmac_f64_e32 v[92:93], v[152:153], v[32:33]
	v_mul_f64 v[32:33], v[154:155], v[32:33]
	v_fma_f64 v[94:95], v[152:153], v[34:35], -v[32:33]
	s_waitcnt lgkmcnt(12)
	v_mul_f64 v[32:33], v[150:151], v[36:37]
	v_fma_f64 v[98:99], v[148:149], v[38:39], -v[32:33]
	s_waitcnt lgkmcnt(11)
	;; [unrolled: 3-line block ×6, first 2 shown]
	v_mul_f64 v[114:115], v[162:163], v[62:63]
	v_mul_f64 v[32:33], v[162:163], v[60:61]
	v_fmac_f64_e32 v[114:115], v[160:161], v[60:61]
	v_fma_f64 v[60:61], v[160:161], v[62:63], -v[32:33]
	s_waitcnt lgkmcnt(5)
	v_mul_f64 v[32:33], v[158:159], v[72:73]
	v_mul_f64 v[106:107], v[170:171], v[54:55]
	v_fma_f64 v[116:117], v[156:157], v[74:75], -v[32:33]
	s_waitcnt lgkmcnt(3)
	v_mul_f64 v[32:33], v[186:187], v[76:77]
	v_fmac_f64_e32 v[106:107], v[168:169], v[52:53]
	v_fma_f64 v[52:53], v[184:185], v[78:79], -v[32:33]
	s_waitcnt lgkmcnt(2)
	v_mul_f64 v[32:33], v[182:183], v[80:81]
	v_mul_f64 v[110:111], v[166:167], v[58:59]
	v_fma_f64 v[54:55], v[180:181], v[82:83], -v[32:33]
	s_waitcnt lgkmcnt(1)
	v_mul_f64 v[32:33], v[178:179], v[84:85]
	v_mul_f64 v[96:97], v[150:151], v[38:39]
	v_fmac_f64_e32 v[110:111], v[164:165], v[56:57]
	v_fma_f64 v[56:57], v[176:177], v[86:87], -v[32:33]
	s_waitcnt lgkmcnt(0)
	v_mul_f64 v[32:33], v[174:175], v[88:89]
	v_fmac_f64_e32 v[96:97], v[148:149], v[36:37]
	v_mul_f64 v[100:101], v[146:147], v[42:43]
	v_fma_f64 v[58:59], v[172:173], v[90:91], -v[32:33]
	v_add_f64 v[32:33], v[28:29], v[92:93]
	v_fmac_f64_e32 v[100:101], v[144:145], v[40:41]
	v_mul_f64 v[42:43], v[142:143], v[46:47]
	v_add_f64 v[32:33], v[32:33], v[96:97]
	v_fmac_f64_e32 v[42:43], v[140:141], v[44:45]
	v_add_f64 v[32:33], v[32:33], v[100:101]
	v_add_f64 v[36:37], v[32:33], v[42:43]
	;; [unrolled: 1-line block ×3, first 2 shown]
	s_mov_b32 s2, 0x134454ff
	v_fma_f64 v[32:33], -0.5, v[32:33], v[28:29]
	v_add_f64 v[34:35], v[94:95], -v[104:105]
	s_mov_b32 s3, 0xbfee6f0e
	s_mov_b32 s0, 0x4755a5e
	;; [unrolled: 1-line block ×3, first 2 shown]
	v_fma_f64 v[40:41], s[2:3], v[34:35], v[32:33]
	v_add_f64 v[38:39], v[98:99], -v[102:103]
	s_mov_b32 s1, 0xbfe2cf23
	v_add_f64 v[44:45], v[92:93], -v[96:97]
	v_add_f64 v[46:47], v[42:43], -v[100:101]
	v_fmac_f64_e32 v[32:33], s[10:11], v[34:35]
	s_mov_b32 s14, s0
	v_fmac_f64_e32 v[40:41], s[0:1], v[38:39]
	v_add_f64 v[44:45], v[44:45], v[46:47]
	v_fmac_f64_e32 v[32:33], s[14:15], v[38:39]
	v_fmac_f64_e32 v[40:41], s[8:9], v[44:45]
	;; [unrolled: 1-line block ×3, first 2 shown]
	v_add_f64 v[44:45], v[92:93], v[42:43]
	v_fmac_f64_e32 v[28:29], -0.5, v[44:45]
	v_fma_f64 v[44:45], s[10:11], v[38:39], v[28:29]
	v_fmac_f64_e32 v[28:29], s[2:3], v[38:39]
	v_fmac_f64_e32 v[44:45], s[0:1], v[34:35]
	;; [unrolled: 1-line block ×3, first 2 shown]
	v_add_f64 v[34:35], v[30:31], v[94:95]
	v_add_f64 v[34:35], v[34:35], v[98:99]
	v_mul_f64 v[62:63], v[158:159], v[74:75]
	v_mul_f64 v[74:75], v[182:183], v[82:83]
	v_add_f64 v[34:35], v[34:35], v[102:103]
	v_fmac_f64_e32 v[62:63], v[156:157], v[72:73]
	v_mul_f64 v[72:73], v[186:187], v[78:79]
	v_fmac_f64_e32 v[74:75], v[180:181], v[80:81]
	v_add_f64 v[46:47], v[96:97], -v[92:93]
	v_add_f64 v[80:81], v[100:101], -v[42:43]
	v_add_f64 v[38:39], v[34:35], v[104:105]
	v_add_f64 v[34:35], v[98:99], v[102:103]
	v_fmac_f64_e32 v[72:73], v[184:185], v[76:77]
	v_mul_f64 v[76:77], v[178:179], v[86:87]
	v_add_f64 v[46:47], v[46:47], v[80:81]
	v_fma_f64 v[34:35], -0.5, v[34:35], v[30:31]
	v_add_f64 v[80:81], v[92:93], -v[42:43]
	v_fmac_f64_e32 v[76:77], v[176:177], v[84:85]
	v_fmac_f64_e32 v[44:45], s[8:9], v[46:47]
	;; [unrolled: 1-line block ×3, first 2 shown]
	v_fma_f64 v[42:43], s[10:11], v[80:81], v[34:35]
	v_add_f64 v[82:83], v[96:97], -v[100:101]
	v_add_f64 v[46:47], v[94:95], -v[98:99]
	;; [unrolled: 1-line block ×3, first 2 shown]
	v_fmac_f64_e32 v[34:35], s[2:3], v[80:81]
	v_fmac_f64_e32 v[42:43], s[14:15], v[82:83]
	v_add_f64 v[46:47], v[46:47], v[84:85]
	v_fmac_f64_e32 v[34:35], s[0:1], v[82:83]
	v_fmac_f64_e32 v[42:43], s[8:9], v[46:47]
	;; [unrolled: 1-line block ×3, first 2 shown]
	v_add_f64 v[46:47], v[94:95], v[104:105]
	v_fmac_f64_e32 v[30:31], -0.5, v[46:47]
	v_fma_f64 v[46:47], s[2:3], v[82:83], v[30:31]
	v_add_f64 v[84:85], v[98:99], -v[94:95]
	v_add_f64 v[86:87], v[102:103], -v[104:105]
	v_fmac_f64_e32 v[30:31], s[10:11], v[82:83]
	v_fmac_f64_e32 v[46:47], s[14:15], v[80:81]
	v_add_f64 v[84:85], v[84:85], v[86:87]
	v_fmac_f64_e32 v[30:31], s[0:1], v[80:81]
	v_add_f64 v[82:83], v[110:111], v[114:115]
	v_mul_f64 v[78:79], v[174:175], v[90:91]
	v_fmac_f64_e32 v[46:47], s[8:9], v[84:85]
	v_fmac_f64_e32 v[30:31], s[8:9], v[84:85]
	v_fma_f64 v[84:85], -0.5, v[82:83], v[64:65]
	v_add_f64 v[82:83], v[108:109], -v[116:117]
	v_fmac_f64_e32 v[78:79], v[172:173], v[88:89]
	v_fma_f64 v[88:89], s[2:3], v[82:83], v[84:85]
	v_add_f64 v[86:87], v[112:113], -v[60:61]
	v_add_f64 v[90:91], v[106:107], -v[110:111]
	;; [unrolled: 1-line block ×3, first 2 shown]
	v_fmac_f64_e32 v[84:85], s[10:11], v[82:83]
	v_fmac_f64_e32 v[88:89], s[0:1], v[86:87]
	v_add_f64 v[90:91], v[90:91], v[92:93]
	v_fmac_f64_e32 v[84:85], s[14:15], v[86:87]
	v_add_f64 v[80:81], v[64:65], v[106:107]
	v_fmac_f64_e32 v[88:89], s[8:9], v[90:91]
	v_fmac_f64_e32 v[84:85], s[8:9], v[90:91]
	v_add_f64 v[90:91], v[106:107], v[62:63]
	v_add_f64 v[80:81], v[80:81], v[110:111]
	v_fmac_f64_e32 v[64:65], -0.5, v[90:91]
	v_add_f64 v[80:81], v[80:81], v[114:115]
	v_fma_f64 v[92:93], s[10:11], v[86:87], v[64:65]
	v_add_f64 v[90:91], v[110:111], -v[106:107]
	v_add_f64 v[94:95], v[114:115], -v[62:63]
	v_fmac_f64_e32 v[64:65], s[2:3], v[86:87]
	v_add_f64 v[86:87], v[112:113], v[60:61]
	v_add_f64 v[80:81], v[80:81], v[62:63]
	v_fmac_f64_e32 v[92:93], s[0:1], v[82:83]
	v_add_f64 v[90:91], v[90:91], v[94:95]
	v_fmac_f64_e32 v[64:65], s[14:15], v[82:83]
	v_fma_f64 v[86:87], -0.5, v[86:87], v[66:67]
	v_add_f64 v[62:63], v[106:107], -v[62:63]
	v_fmac_f64_e32 v[92:93], s[8:9], v[90:91]
	v_fmac_f64_e32 v[64:65], s[8:9], v[90:91]
	v_fma_f64 v[90:91], s[10:11], v[62:63], v[86:87]
	v_add_f64 v[96:97], v[110:111], -v[114:115]
	v_add_f64 v[94:95], v[108:109], -v[112:113]
	v_add_f64 v[98:99], v[116:117], -v[60:61]
	v_fmac_f64_e32 v[86:87], s[2:3], v[62:63]
	v_fmac_f64_e32 v[90:91], s[14:15], v[96:97]
	v_add_f64 v[94:95], v[94:95], v[98:99]
	v_fmac_f64_e32 v[86:87], s[0:1], v[96:97]
	v_add_f64 v[82:83], v[66:67], v[108:109]
	v_fmac_f64_e32 v[90:91], s[8:9], v[94:95]
	v_fmac_f64_e32 v[86:87], s[8:9], v[94:95]
	v_add_f64 v[94:95], v[108:109], v[116:117]
	v_add_f64 v[82:83], v[82:83], v[112:113]
	v_fmac_f64_e32 v[66:67], -0.5, v[94:95]
	v_add_f64 v[82:83], v[82:83], v[60:61]
	v_fma_f64 v[94:95], s[2:3], v[96:97], v[66:67]
	v_add_f64 v[98:99], v[112:113], -v[108:109]
	v_add_f64 v[60:61], v[60:61], -v[116:117]
	v_fmac_f64_e32 v[66:67], s[10:11], v[96:97]
	v_fmac_f64_e32 v[94:95], s[14:15], v[62:63]
	v_add_f64 v[60:61], v[98:99], v[60:61]
	v_fmac_f64_e32 v[66:67], s[0:1], v[62:63]
	v_fmac_f64_e32 v[94:95], s[8:9], v[60:61]
	;; [unrolled: 1-line block ×3, first 2 shown]
	v_add_f64 v[60:61], v[68:69], v[72:73]
	v_add_f64 v[60:61], v[60:61], v[74:75]
	;; [unrolled: 1-line block ×5, first 2 shown]
	v_fma_f64 v[60:61], -0.5, v[60:61], v[68:69]
	v_add_f64 v[62:63], v[52:53], -v[58:59]
	v_fma_f64 v[100:101], s[2:3], v[62:63], v[60:61]
	v_add_f64 v[98:99], v[54:55], -v[56:57]
	v_add_f64 v[102:103], v[72:73], -v[74:75]
	;; [unrolled: 1-line block ×3, first 2 shown]
	v_fmac_f64_e32 v[60:61], s[10:11], v[62:63]
	v_fmac_f64_e32 v[100:101], s[0:1], v[98:99]
	v_add_f64 v[102:103], v[102:103], v[104:105]
	v_fmac_f64_e32 v[60:61], s[14:15], v[98:99]
	v_fmac_f64_e32 v[100:101], s[8:9], v[102:103]
	;; [unrolled: 1-line block ×3, first 2 shown]
	v_add_f64 v[102:103], v[72:73], v[78:79]
	v_fmac_f64_e32 v[68:69], -0.5, v[102:103]
	v_fma_f64 v[104:105], s[10:11], v[98:99], v[68:69]
	v_fmac_f64_e32 v[68:69], s[2:3], v[98:99]
	v_fmac_f64_e32 v[104:105], s[0:1], v[62:63]
	;; [unrolled: 1-line block ×3, first 2 shown]
	v_add_f64 v[62:63], v[70:71], v[52:53]
	v_add_f64 v[62:63], v[62:63], v[54:55]
	v_add_f64 v[62:63], v[62:63], v[56:57]
	v_add_f64 v[102:103], v[74:75], -v[72:73]
	v_add_f64 v[106:107], v[76:77], -v[78:79]
	v_add_f64 v[98:99], v[62:63], v[58:59]
	v_add_f64 v[62:63], v[54:55], v[56:57]
	;; [unrolled: 1-line block ×3, first 2 shown]
	v_fma_f64 v[62:63], -0.5, v[62:63], v[70:71]
	v_add_f64 v[72:73], v[72:73], -v[78:79]
	v_fmac_f64_e32 v[104:105], s[8:9], v[102:103]
	v_fmac_f64_e32 v[68:69], s[8:9], v[102:103]
	v_fma_f64 v[102:103], s[10:11], v[72:73], v[62:63]
	v_add_f64 v[74:75], v[74:75], -v[76:77]
	v_add_f64 v[76:77], v[52:53], -v[54:55]
	;; [unrolled: 1-line block ×3, first 2 shown]
	v_fmac_f64_e32 v[62:63], s[2:3], v[72:73]
	v_fmac_f64_e32 v[102:103], s[14:15], v[74:75]
	v_add_f64 v[76:77], v[76:77], v[78:79]
	v_fmac_f64_e32 v[62:63], s[0:1], v[74:75]
	v_fmac_f64_e32 v[102:103], s[8:9], v[76:77]
	;; [unrolled: 1-line block ×3, first 2 shown]
	v_add_f64 v[76:77], v[52:53], v[58:59]
	v_fmac_f64_e32 v[70:71], -0.5, v[76:77]
	v_fma_f64 v[106:107], s[2:3], v[74:75], v[70:71]
	v_add_f64 v[52:53], v[54:55], -v[52:53]
	v_add_f64 v[54:55], v[56:57], -v[58:59]
	v_fmac_f64_e32 v[70:71], s[10:11], v[74:75]
	v_fmac_f64_e32 v[106:107], s[14:15], v[72:73]
	v_add_f64 v[52:53], v[52:53], v[54:55]
	v_fmac_f64_e32 v[70:71], s[0:1], v[72:73]
	v_add_f64 v[82:83], v[82:83], v[116:117]
	v_fmac_f64_e32 v[106:107], s[8:9], v[52:53]
	v_fmac_f64_e32 v[70:71], s[8:9], v[52:53]
	v_accvgpr_read_b32 v52, a129
	s_waitcnt lgkmcnt(0)
	; wave barrier
	ds_write_b128 v52, v[36:39]
	ds_write_b128 v52, v[40:43] offset:432
	ds_write_b128 v52, v[44:47] offset:864
	ds_write_b128 v52, v[28:31] offset:1296
	ds_write_b128 v52, v[32:35] offset:1728
	ds_write_b128 v49, v[80:83]
	ds_write_b128 v49, v[88:91] offset:432
	ds_write_b128 v49, v[92:95] offset:864
	ds_write_b128 v49, v[64:67] offset:1296
	ds_write_b128 v49, v[84:87] offset:1728
	;; [unrolled: 5-line block ×3, first 2 shown]
	s_waitcnt lgkmcnt(0)
	; wave barrier
	s_waitcnt lgkmcnt(0)
	ds_read_b128 v[64:67], v48
	ds_read_b128 v[96:99], v48 offset:2160
	ds_read_b128 v[92:95], v48 offset:4320
	;; [unrolled: 1-line block ×13, first 2 shown]
	s_and_saveexec_b64 s[0:1], vcc
	s_cbranch_execz .LBB0_7
; %bb.6:
	ds_read_b128 v[60:63], v48 offset:2016
	ds_read_b128 v[4:7], v48 offset:4176
	;; [unrolled: 1-line block ×7, first 2 shown]
.LBB0_7:
	s_or_b64 exec, exec, s[0:1]
	s_waitcnt lgkmcnt(11)
	v_mul_f64 v[56:57], v[218:219], v[94:95]
	v_fmac_f64_e32 v[56:57], v[216:217], v[92:93]
	v_mul_f64 v[58:59], v[218:219], v[92:93]
	s_waitcnt lgkmcnt(10)
	v_mul_f64 v[92:93], v[214:215], v[90:91]
	v_fmac_f64_e32 v[92:93], v[212:213], v[88:89]
	v_mul_f64 v[88:89], v[214:215], v[88:89]
	v_fma_f64 v[88:89], v[212:213], v[90:91], -v[88:89]
	s_waitcnt lgkmcnt(9)
	v_mul_f64 v[90:91], v[210:211], v[78:79]
	v_fmac_f64_e32 v[90:91], v[208:209], v[76:77]
	v_mul_f64 v[76:77], v[210:211], v[76:77]
	v_fma_f64 v[76:77], v[208:209], v[78:79], -v[76:77]
	;; [unrolled: 5-line block ×4, first 2 shown]
	v_fma_f64 v[32:33], v[220:221], v[34:35], -v[32:33]
	s_waitcnt lgkmcnt(5)
	v_mul_f64 v[94:95], v[254:255], v[86:87]
	v_mul_f64 v[34:35], v[254:255], v[84:85]
	v_fmac_f64_e32 v[94:95], v[252:253], v[84:85]
	v_fma_f64 v[84:85], v[252:253], v[86:87], -v[34:35]
	s_waitcnt lgkmcnt(4)
	v_mul_f64 v[86:87], v[246:247], v[82:83]
	v_mul_f64 v[34:35], v[246:247], v[80:81]
	v_fmac_f64_e32 v[86:87], v[244:245], v[80:81]
	;; [unrolled: 5-line block ×3, first 2 shown]
	v_fma_f64 v[72:73], v[240:241], v[74:75], -v[34:35]
	s_waitcnt lgkmcnt(2)
	v_mul_f64 v[74:75], v[238:239], v[70:71]
	v_mul_f64 v[34:35], v[238:239], v[68:69]
	;; [unrolled: 1-line block ×4, first 2 shown]
	v_fmac_f64_e32 v[74:75], v[236:237], v[68:69]
	v_fma_f64 v[68:69], v[236:237], v[70:71], -v[34:35]
	s_waitcnt lgkmcnt(1)
	v_mul_f64 v[70:71], v[2:3], v[42:43]
	v_mul_f64 v[2:3], v[2:3], v[40:41]
	v_fmac_f64_e32 v[52:53], v[224:225], v[96:97]
	v_fma_f64 v[54:55], v[224:225], v[98:99], -v[54:55]
	v_fmac_f64_e32 v[70:71], v[0:1], v[40:41]
	v_fma_f64 v[96:97], v[0:1], v[42:43], -v[2:3]
	s_waitcnt lgkmcnt(0)
	v_mul_f64 v[98:99], v[250:251], v[38:39]
	v_mul_f64 v[0:1], v[250:251], v[36:37]
	v_fmac_f64_e32 v[98:99], v[248:249], v[36:37]
	v_fma_f64 v[100:101], v[248:249], v[38:39], -v[0:1]
	v_add_f64 v[0:1], v[52:53], v[46:47]
	v_add_f64 v[36:37], v[56:57], v[78:79]
	;; [unrolled: 1-line block ×3, first 2 shown]
	v_add_f64 v[34:35], v[52:53], -v[46:47]
	v_add_f64 v[38:39], v[58:59], v[44:45]
	v_add_f64 v[40:41], v[56:57], -v[78:79]
	v_add_f64 v[42:43], v[58:59], -v[44:45]
	v_add_f64 v[44:45], v[92:93], v[90:91]
	v_add_f64 v[52:53], v[90:91], -v[92:93]
	v_add_f64 v[56:57], v[36:37], v[0:1]
	;; [unrolled: 2-line block ×4, first 2 shown]
	v_add_f64 v[76:77], v[36:37], -v[0:1]
	v_add_f64 v[88:89], v[0:1], -v[44:45]
	;; [unrolled: 1-line block ×3, first 2 shown]
	v_add_f64 v[0:1], v[52:53], v[40:41]
	v_add_f64 v[44:45], v[44:45], v[56:57]
	v_add_f64 v[78:79], v[38:39], -v[2:3]
	v_add_f64 v[90:91], v[2:3], -v[46:47]
	;; [unrolled: 1-line block ×3, first 2 shown]
	v_add_f64 v[2:3], v[54:55], v[42:43]
	v_add_f64 v[92:93], v[52:53], -v[40:41]
	v_add_f64 v[52:53], v[34:35], -v[52:53]
	;; [unrolled: 1-line block ×3, first 2 shown]
	v_add_f64 v[46:47], v[46:47], v[58:59]
	v_add_f64 v[34:35], v[0:1], v[34:35]
	;; [unrolled: 1-line block ×3, first 2 shown]
	s_mov_b32 s8, 0x37e14327
	s_mov_b32 s10, 0x36b3c0b5
	;; [unrolled: 1-line block ×5, first 2 shown]
	v_add_f64 v[102:103], v[54:55], -v[42:43]
	v_add_f64 v[54:55], v[32:33], -v[54:55]
	;; [unrolled: 1-line block ×3, first 2 shown]
	v_add_f64 v[32:33], v[2:3], v[32:33]
	v_add_f64 v[2:3], v[66:67], v[46:47]
	s_mov_b32 s9, 0x3fe948f6
	s_mov_b32 s11, 0x3fac98ee
	;; [unrolled: 1-line block ×5, first 2 shown]
	v_mov_b64_e32 v[104:105], v[0:1]
	s_mov_b32 s2, 0x5476071b
	s_mov_b32 s24, 0xb247c609
	v_mul_f64 v[56:57], v[88:89], s[8:9]
	v_mul_f64 v[58:59], v[90:91], s[8:9]
	;; [unrolled: 1-line block ×8, first 2 shown]
	v_fmac_f64_e32 v[104:105], s[22:23], v[44:45]
	v_mov_b64_e32 v[44:45], v[2:3]
	s_mov_b32 s3, 0x3fe77f67
	s_mov_b32 s17, 0xbfe77f67
	;; [unrolled: 1-line block ×7, first 2 shown]
	v_fmac_f64_e32 v[44:45], s[22:23], v[46:47]
	v_fma_f64 v[46:47], v[76:77], s[2:3], -v[64:65]
	v_fma_f64 v[64:65], v[78:79], s[2:3], -v[66:67]
	;; [unrolled: 1-line block ×3, first 2 shown]
	v_fmac_f64_e32 v[56:57], s[10:11], v[36:37]
	v_fma_f64 v[36:37], v[78:79], s[16:17], -v[58:59]
	v_fma_f64 v[76:77], v[40:41], s[0:1], -v[88:89]
	v_fmac_f64_e32 v[88:89], s[24:25], v[52:53]
	v_fma_f64 v[78:79], v[42:43], s[0:1], -v[90:91]
	v_fma_f64 v[92:93], v[52:53], s[20:21], -v[92:93]
	;; [unrolled: 1-line block ×3, first 2 shown]
	s_mov_b32 s19, 0xbfdc38aa
	v_fmac_f64_e32 v[58:59], s[10:11], v[38:39]
	v_fmac_f64_e32 v[90:91], s[24:25], v[54:55]
	v_add_f64 v[46:47], v[46:47], v[104:105]
	v_add_f64 v[54:55], v[64:65], v[44:45]
	;; [unrolled: 1-line block ×4, first 2 shown]
	v_fmac_f64_e32 v[76:77], s[18:19], v[34:35]
	v_fmac_f64_e32 v[78:79], s[18:19], v[32:33]
	;; [unrolled: 1-line block ×4, first 2 shown]
	v_add_f64 v[56:57], v[56:57], v[104:105]
	v_add_f64 v[58:59], v[58:59], v[44:45]
	v_fmac_f64_e32 v[88:89], s[18:19], v[34:35]
	v_fmac_f64_e32 v[90:91], s[18:19], v[32:33]
	v_add_f64 v[36:37], v[52:53], v[64:65]
	v_add_f64 v[38:39], v[66:67], -v[92:93]
	v_add_f64 v[40:41], v[46:47], -v[78:79]
	v_add_f64 v[42:43], v[76:77], v[54:55]
	v_add_f64 v[44:45], v[78:79], v[46:47]
	v_add_f64 v[46:47], v[54:55], -v[76:77]
	v_add_f64 v[52:53], v[64:65], -v[52:53]
	v_add_f64 v[54:55], v[92:93], v[66:67]
	v_add_f64 v[64:65], v[94:95], v[98:99]
	v_add_f64 v[66:67], v[84:85], v[100:101]
	v_add_f64 v[78:79], v[84:85], -v[100:101]
	v_add_f64 v[84:85], v[86:87], v[70:71]
	v_add_f64 v[32:33], v[90:91], v[56:57]
	v_add_f64 v[34:35], v[58:59], -v[88:89]
	v_add_f64 v[56:57], v[56:57], -v[90:91]
	v_add_f64 v[58:59], v[88:89], v[58:59]
	v_add_f64 v[88:89], v[80:81], v[96:97]
	v_add_f64 v[70:71], v[86:87], -v[70:71]
	v_add_f64 v[86:87], v[82:83], v[74:75]
	v_add_f64 v[90:91], v[72:73], v[68:69]
	v_add_f64 v[68:69], v[68:69], -v[72:73]
	v_add_f64 v[72:73], v[84:85], v[64:65]
	v_add_f64 v[74:75], v[74:75], -v[82:83]
	v_add_f64 v[82:83], v[88:89], v[66:67]
	v_add_f64 v[72:73], v[86:87], v[72:73]
	v_add_f64 v[76:77], v[94:95], -v[98:99]
	v_add_f64 v[80:81], v[80:81], -v[96:97]
	v_add_f64 v[82:83], v[90:91], v[82:83]
	v_add_f64 v[28:29], v[28:29], v[72:73]
	v_add_f64 v[92:93], v[84:85], -v[64:65]
	v_add_f64 v[94:95], v[88:89], -v[66:67]
	;; [unrolled: 1-line block ×6, first 2 shown]
	v_add_f64 v[96:97], v[74:75], v[70:71]
	v_add_f64 v[98:99], v[68:69], v[80:81]
	v_add_f64 v[100:101], v[74:75], -v[70:71]
	v_add_f64 v[102:103], v[68:69], -v[80:81]
	;; [unrolled: 1-line block ×4, first 2 shown]
	v_add_f64 v[30:31], v[30:31], v[82:83]
	v_mov_b64_e32 v[104:105], v[28:29]
	v_add_f64 v[74:75], v[76:77], -v[74:75]
	v_add_f64 v[68:69], v[78:79], -v[68:69]
	v_add_f64 v[76:77], v[96:97], v[76:77]
	v_add_f64 v[78:79], v[98:99], v[78:79]
	v_mul_f64 v[64:65], v[64:65], s[8:9]
	v_mul_f64 v[66:67], v[66:67], s[8:9]
	v_mul_f64 v[86:87], v[84:85], s[10:11]
	v_mul_f64 v[90:91], v[88:89], s[10:11]
	v_mul_f64 v[96:97], v[100:101], s[14:15]
	v_mul_f64 v[98:99], v[102:103], s[14:15]
	v_mul_f64 v[100:101], v[70:71], s[0:1]
	v_mul_f64 v[102:103], v[80:81], s[0:1]
	v_fmac_f64_e32 v[104:105], s[22:23], v[72:73]
	v_mov_b64_e32 v[72:73], v[30:31]
	v_fmac_f64_e32 v[72:73], s[22:23], v[82:83]
	v_fma_f64 v[82:83], v[92:93], s[2:3], -v[86:87]
	v_fma_f64 v[86:87], v[94:95], s[2:3], -v[90:91]
	;; [unrolled: 1-line block ×3, first 2 shown]
	v_fmac_f64_e32 v[64:65], s[10:11], v[84:85]
	v_fma_f64 v[84:85], v[94:95], s[16:17], -v[66:67]
	v_fmac_f64_e32 v[66:67], s[10:11], v[88:89]
	v_fma_f64 v[88:89], v[70:71], s[0:1], -v[96:97]
	v_fmac_f64_e32 v[96:97], s[24:25], v[74:75]
	v_fma_f64 v[80:81], v[80:81], s[0:1], -v[98:99]
	v_fmac_f64_e32 v[98:99], s[24:25], v[68:69]
	v_fma_f64 v[92:93], v[74:75], s[20:21], -v[100:101]
	v_fma_f64 v[94:95], v[68:69], s[20:21], -v[102:103]
	v_add_f64 v[100:101], v[64:65], v[104:105]
	v_add_f64 v[102:103], v[66:67], v[72:73]
	;; [unrolled: 1-line block ×6, first 2 shown]
	v_fmac_f64_e32 v[96:97], s[18:19], v[76:77]
	v_fmac_f64_e32 v[98:99], s[18:19], v[78:79]
	;; [unrolled: 1-line block ×6, first 2 shown]
	v_add_f64 v[64:65], v[98:99], v[100:101]
	v_add_f64 v[66:67], v[102:103], -v[96:97]
	v_add_f64 v[68:69], v[94:95], v[90:91]
	v_add_f64 v[70:71], v[84:85], -v[92:93]
	v_add_f64 v[72:73], v[82:83], -v[80:81]
	v_add_f64 v[74:75], v[88:89], v[86:87]
	v_add_f64 v[76:77], v[80:81], v[82:83]
	v_add_f64 v[78:79], v[86:87], -v[88:89]
	v_add_f64 v[80:81], v[90:91], -v[94:95]
	v_add_f64 v[82:83], v[92:93], v[84:85]
	v_add_f64 v[84:85], v[100:101], -v[98:99]
	v_add_f64 v[86:87], v[96:97], v[102:103]
	ds_write_b128 v48, v[0:3]
	ds_write_b128 v48, v[32:35] offset:2160
	ds_write_b128 v48, v[36:39] offset:4320
	;; [unrolled: 1-line block ×13, first 2 shown]
	s_and_saveexec_b64 s[26:27], vcc
	s_cbranch_execz .LBB0_9
; %bb.8:
	v_mul_f64 v[0:1], v[202:203], v[6:7]
	v_mul_f64 v[28:29], v[206:207], v[26:27]
	;; [unrolled: 1-line block ×6, first 2 shown]
	v_fmac_f64_e32 v[0:1], v[200:201], v[4:5]
	v_fmac_f64_e32 v[28:29], v[204:205], v[24:25]
	;; [unrolled: 1-line block ×6, first 2 shown]
	v_add_f64 v[30:31], v[0:1], -v[28:29]
	v_add_f64 v[2:3], v[32:33], -v[34:35]
	;; [unrolled: 1-line block ×5, first 2 shown]
	v_add_f64 v[2:3], v[2:3], v[42:43]
	v_add_f64 v[52:53], v[2:3], v[30:31]
	v_mul_f64 v[2:3], v[206:207], v[24:25]
	v_fma_f64 v[24:25], v[204:205], v[26:27], -v[2:3]
	v_mul_f64 v[2:3], v[202:203], v[4:5]
	v_fma_f64 v[4:5], v[200:201], v[6:7], -v[2:3]
	;; [unrolled: 2-line block ×3, first 2 shown]
	v_mul_f64 v[2:3], v[198:199], v[8:9]
	v_mul_f64 v[6:7], v[194:195], v[12:13]
	v_fma_f64 v[8:9], v[196:197], v[10:11], -v[2:3]
	v_fma_f64 v[12:13], v[192:193], v[14:15], -v[6:7]
	v_mul_f64 v[6:7], v[190:191], v[16:17]
	v_add_f64 v[26:27], v[4:5], v[24:25]
	v_add_f64 v[10:11], v[8:9], v[20:21]
	v_fma_f64 v[14:15], v[188:189], v[18:19], -v[6:7]
	v_add_f64 v[2:3], v[10:11], v[26:27]
	v_add_f64 v[6:7], v[12:13], v[14:15]
	;; [unrolled: 1-line block ×9, first 2 shown]
	v_mov_b64_e32 v[18:19], v[2:3]
	v_add_f64 v[0:1], v[60:61], v[34:35]
	v_add_f64 v[24:25], v[4:5], -v[24:25]
	v_add_f64 v[4:5], v[14:15], -v[12:13]
	v_add_f64 v[8:9], v[8:9], -v[20:21]
	v_fmac_f64_e32 v[18:19], s[22:23], v[16:17]
	v_add_f64 v[16:17], v[26:27], -v[6:7]
	v_mov_b64_e32 v[40:41], v[0:1]
	v_add_f64 v[12:13], v[24:25], -v[4:5]
	v_add_f64 v[14:15], v[4:5], -v[8:9]
	v_add_f64 v[4:5], v[4:5], v[8:9]
	v_mul_f64 v[16:17], v[16:17], s[8:9]
	v_add_f64 v[6:7], v[6:7], -v[10:11]
	v_fmac_f64_e32 v[40:41], s[22:23], v[34:35]
	v_add_f64 v[34:35], v[28:29], -v[32:33]
	v_add_f64 v[60:61], v[4:5], v[24:25]
	v_add_f64 v[26:27], v[10:11], -v[26:27]
	v_add_f64 v[24:25], v[8:9], -v[24:25]
	v_mul_f64 v[22:23], v[6:7], s[10:11]
	v_fma_f64 v[6:7], s[10:11], v[6:7], v[16:17]
	v_mul_f64 v[34:35], v[34:35], s[8:9]
	v_add_f64 v[32:33], v[32:33], -v[38:39]
	v_mul_f64 v[20:21], v[14:15], s[14:15]
	v_add_f64 v[14:15], v[42:43], -v[30:31]
	v_fma_f64 v[10:11], v[26:27], s[16:17], -v[16:17]
	v_add_f64 v[16:17], v[38:39], -v[28:29]
	v_mul_f64 v[8:9], v[24:25], s[0:1]
	v_mul_f64 v[44:45], v[44:45], s[14:15]
	;; [unrolled: 1-line block ×3, first 2 shown]
	v_fma_f64 v[32:33], s[10:11], v[32:33], v[34:35]
	v_fma_f64 v[58:59], s[24:25], v[12:13], v[20:21]
	v_mul_f64 v[30:31], v[14:15], s[0:1]
	v_fma_f64 v[28:29], v[16:17], s[16:17], -v[34:35]
	v_fma_f64 v[34:35], v[12:13], s[20:21], -v[8:9]
	;; [unrolled: 1-line block ×3, first 2 shown]
	v_fma_f64 v[46:47], s[24:25], v[36:37], v[44:45]
	v_add_f64 v[54:55], v[6:7], v[18:19]
	v_fma_f64 v[30:31], v[36:37], s[20:21], -v[30:31]
	v_add_f64 v[36:37], v[10:11], v[18:19]
	v_add_f64 v[18:19], v[12:13], v[18:19]
	v_fma_f64 v[22:23], v[14:15], s[0:1], -v[44:45]
	v_fma_f64 v[12:13], v[16:17], s[2:3], -v[56:57]
	;; [unrolled: 1-line block ×3, first 2 shown]
	v_fmac_f64_e32 v[46:47], s[18:19], v[52:53]
	v_add_f64 v[32:33], v[32:33], v[40:41]
	v_fmac_f64_e32 v[58:59], s[18:19], v[60:61]
	v_fmac_f64_e32 v[30:31], s[18:19], v[52:53]
	v_add_f64 v[28:29], v[28:29], v[40:41]
	v_fmac_f64_e32 v[34:35], s[18:19], v[60:61]
	v_fmac_f64_e32 v[22:23], s[18:19], v[52:53]
	v_add_f64 v[16:17], v[12:13], v[40:41]
	v_fmac_f64_e32 v[20:21], s[18:19], v[60:61]
	v_add_f64 v[6:7], v[46:47], v[54:55]
	v_add_f64 v[4:5], v[32:33], -v[58:59]
	v_add_f64 v[10:11], v[30:31], v[36:37]
	v_add_f64 v[8:9], v[28:29], -v[34:35]
	v_add_f64 v[14:15], v[18:19], -v[22:23]
	v_add_f64 v[12:13], v[20:21], v[16:17]
	v_add_f64 v[18:19], v[22:23], v[18:19]
	v_add_f64 v[16:17], v[16:17], -v[20:21]
	v_add_f64 v[22:23], v[36:37], -v[30:31]
	v_add_f64 v[20:21], v[34:35], v[28:29]
	v_add_f64 v[26:27], v[54:55], -v[46:47]
	v_add_f64 v[24:25], v[58:59], v[32:33]
	ds_write_b128 v48, v[0:3] offset:2016
	ds_write_b128 v48, v[24:27] offset:4176
	;; [unrolled: 1-line block ×7, first 2 shown]
.LBB0_9:
	s_or_b64 exec, exec, s[26:27]
	s_waitcnt lgkmcnt(0)
	; wave barrier
	s_waitcnt lgkmcnt(0)
	ds_read_b128 v[4:7], v48
	v_mad_u64_u32 v[14:15], s[0:1], s6, v122, 0
	v_mov_b32_e32 v0, v15
	v_accvgpr_read_b32 v16, a20
	v_mad_u64_u32 v[0:1], s[0:1], s7, v122, v[0:1]
	v_accvgpr_read_b32 v18, a22
	v_accvgpr_read_b32 v19, a23
	v_mov_b32_e32 v15, v0
	ds_read_b128 v[0:3], v48 offset:1008
	v_accvgpr_read_b32 v17, a21
	s_waitcnt lgkmcnt(1)
	v_mul_f64 v[8:9], v[18:19], v[6:7]
	v_fmac_f64_e32 v[8:9], v[16:17], v[4:5]
	s_mov_b32 s0, 0xbc011567
	v_mul_f64 v[4:5], v[18:19], v[4:5]
	s_mov_b32 s1, 0x3f51566a
	v_fma_f64 v[4:5], v[16:17], v[6:7], -v[4:5]
	v_mad_u64_u32 v[16:17], s[2:3], s4, v50, 0
	v_mul_f64 v[10:11], v[4:5], s[0:1]
	v_mov_b32_e32 v4, v17
	v_mad_u64_u32 v[4:5], s[2:3], s5, v50, v[4:5]
	v_mov_b32_e32 v17, v4
	ds_read_b128 v[4:7], v48 offset:5040
	v_mov_b32_e32 v12, s12
	v_mov_b32_e32 v13, s13
	v_lshl_add_u64 v[12:13], v[14:15], 4, v[12:13]
	v_accvgpr_read_b32 v21, a3
	v_mul_f64 v[8:9], v[8:9], s[0:1]
	v_lshl_add_u64 v[16:17], v[16:17], 4, v[12:13]
	v_accvgpr_read_b32 v20, a2
	global_store_dwordx4 v[16:17], v[8:11], off
	ds_read_b128 v[8:11], v48 offset:4032
	v_accvgpr_read_b32 v19, a1
	v_accvgpr_read_b32 v18, a0
	s_waitcnt lgkmcnt(1)
	v_mul_f64 v[12:13], v[20:21], v[6:7]
	v_fmac_f64_e32 v[12:13], v[18:19], v[4:5]
	v_mul_f64 v[4:5], v[20:21], v[4:5]
	v_fma_f64 v[4:5], v[18:19], v[6:7], -v[4:5]
	v_mul_f64 v[14:15], v[4:5], s[0:1]
	ds_read_b128 v[4:7], v48 offset:10080
	v_mov_b32_e32 v22, 0x13b0
	v_mad_u64_u32 v[20:21], s[2:3], s4, v22, v[16:17]
	s_mul_i32 s6, s5, 0x13b0
	v_accvgpr_read_b32 v27, a7
	v_mul_f64 v[12:13], v[12:13], s[0:1]
	v_add_u32_e32 v21, s6, v21
	v_accvgpr_read_b32 v26, a6
	global_store_dwordx4 v[20:21], v[12:15], off
	ds_read_b128 v[12:15], v48 offset:11088
	v_accvgpr_read_b32 v25, a5
	v_accvgpr_read_b32 v24, a4
	s_waitcnt lgkmcnt(1)
	v_mul_f64 v[16:17], v[26:27], v[6:7]
	v_fmac_f64_e32 v[16:17], v[24:25], v[4:5]
	v_mul_f64 v[4:5], v[26:27], v[4:5]
	v_fma_f64 v[4:5], v[24:25], v[6:7], -v[4:5]
	v_mad_u64_u32 v[20:21], s[2:3], s4, v22, v[20:21]
	v_mul_f64 v[16:17], v[16:17], s[0:1]
	v_mul_f64 v[18:19], v[4:5], s[0:1]
	v_add_u32_e32 v21, s6, v21
	global_store_dwordx4 v[20:21], v[16:19], off
	v_mov_b32_e32 v23, 0xffffdc90
	v_mad_u64_u32 v[20:21], s[2:3], s4, v23, v[20:21]
	v_accvgpr_read_b32 v19, a11
	v_accvgpr_read_b32 v18, a10
	;; [unrolled: 1-line block ×4, first 2 shown]
	v_mul_f64 v[4:5], v[18:19], v[2:3]
	v_fmac_f64_e32 v[4:5], v[16:17], v[0:1]
	v_mul_f64 v[0:1], v[18:19], v[0:1]
	v_fma_f64 v[0:1], v[16:17], v[2:3], -v[0:1]
	v_mul_f64 v[6:7], v[0:1], s[0:1]
	ds_read_b128 v[0:3], v48 offset:6048
	s_mul_i32 s2, s5, 0xffffdc90
	s_sub_i32 s5, s2, s4
	v_accvgpr_read_b32 v27, a15
	v_mul_f64 v[4:5], v[4:5], s[0:1]
	v_add_u32_e32 v21, s5, v21
	v_accvgpr_read_b32 v26, a14
	global_store_dwordx4 v[20:21], v[4:7], off
	ds_read_b128 v[4:7], v48 offset:7056
	v_accvgpr_read_b32 v25, a13
	v_accvgpr_read_b32 v24, a12
	s_waitcnt lgkmcnt(1)
	v_mul_f64 v[16:17], v[26:27], v[2:3]
	v_fmac_f64_e32 v[16:17], v[24:25], v[0:1]
	v_mul_f64 v[0:1], v[26:27], v[0:1]
	v_fma_f64 v[0:1], v[24:25], v[2:3], -v[0:1]
	v_mad_u64_u32 v[20:21], s[2:3], s4, v22, v[20:21]
	v_mul_f64 v[16:17], v[16:17], s[0:1]
	v_mul_f64 v[18:19], v[0:1], s[0:1]
	v_add_u32_e32 v21, s6, v21
	global_store_dwordx4 v[20:21], v[16:19], off
	v_mad_u64_u32 v[20:21], s[2:3], s4, v22, v[20:21]
	s_nop 0
	v_accvgpr_read_b32 v16, a16
	v_accvgpr_read_b32 v18, a18
	;; [unrolled: 1-line block ×4, first 2 shown]
	v_mul_f64 v[0:1], v[18:19], v[14:15]
	v_mul_f64 v[2:3], v[18:19], v[12:13]
	v_fmac_f64_e32 v[0:1], v[16:17], v[12:13]
	v_fma_f64 v[2:3], v[16:17], v[14:15], -v[2:3]
	ds_read_b128 v[12:15], v48 offset:2016
	v_accvgpr_read_b32 v24, a24
	v_mul_f64 v[0:1], v[0:1], s[0:1]
	v_mul_f64 v[2:3], v[2:3], s[0:1]
	v_add_u32_e32 v21, s6, v21
	v_accvgpr_read_b32 v26, a26
	v_accvgpr_read_b32 v27, a27
	global_store_dwordx4 v[20:21], v[0:3], off
	ds_read_b128 v[0:3], v48 offset:3024
	v_accvgpr_read_b32 v25, a25
	s_waitcnt lgkmcnt(1)
	v_mul_f64 v[16:17], v[26:27], v[14:15]
	v_fmac_f64_e32 v[16:17], v[24:25], v[12:13]
	v_mul_f64 v[12:13], v[26:27], v[12:13]
	v_fma_f64 v[12:13], v[24:25], v[14:15], -v[12:13]
	v_mad_u64_u32 v[20:21], s[2:3], s4, v23, v[20:21]
	v_mul_f64 v[16:17], v[16:17], s[0:1]
	v_mul_f64 v[18:19], v[12:13], s[0:1]
	v_add_u32_e32 v21, s5, v21
	global_store_dwordx4 v[20:21], v[16:19], off
	v_accvgpr_read_b32 v14, a28
	v_accvgpr_read_b32 v15, a29
	;; [unrolled: 1-line block ×4, first 2 shown]
	v_mul_f64 v[12:13], v[16:17], v[6:7]
	v_fmac_f64_e32 v[12:13], v[14:15], v[4:5]
	v_mul_f64 v[4:5], v[16:17], v[4:5]
	v_fma_f64 v[4:5], v[14:15], v[6:7], -v[4:5]
	v_mul_f64 v[14:15], v[4:5], s[0:1]
	ds_read_b128 v[4:7], v48 offset:12096
	v_mad_u64_u32 v[20:21], s[2:3], s4, v22, v[20:21]
	v_accvgpr_read_b32 v24, a32
	v_mul_f64 v[12:13], v[12:13], s[0:1]
	v_add_u32_e32 v21, s6, v21
	v_accvgpr_read_b32 v26, a34
	v_accvgpr_read_b32 v27, a35
	global_store_dwordx4 v[20:21], v[12:15], off
	ds_read_b128 v[12:15], v48 offset:13104
	v_accvgpr_read_b32 v25, a33
	s_waitcnt lgkmcnt(1)
	v_mul_f64 v[16:17], v[26:27], v[6:7]
	v_fmac_f64_e32 v[16:17], v[24:25], v[4:5]
	v_mul_f64 v[4:5], v[26:27], v[4:5]
	v_fma_f64 v[4:5], v[24:25], v[6:7], -v[4:5]
	v_mad_u64_u32 v[20:21], s[2:3], s4, v22, v[20:21]
	v_mul_f64 v[16:17], v[16:17], s[0:1]
	v_mul_f64 v[18:19], v[4:5], s[0:1]
	v_add_u32_e32 v21, s6, v21
	global_store_dwordx4 v[20:21], v[16:19], off
	v_mad_u64_u32 v[20:21], s[2:3], s4, v23, v[20:21]
	s_nop 0
	v_accvgpr_read_b32 v16, a36
	v_accvgpr_read_b32 v18, a38
	;; [unrolled: 1-line block ×4, first 2 shown]
	v_mul_f64 v[4:5], v[18:19], v[2:3]
	v_fmac_f64_e32 v[4:5], v[16:17], v[0:1]
	v_mul_f64 v[0:1], v[18:19], v[0:1]
	v_fma_f64 v[0:1], v[16:17], v[2:3], -v[0:1]
	v_mul_f64 v[6:7], v[0:1], s[0:1]
	ds_read_b128 v[0:3], v48 offset:8064
	v_accvgpr_read_b32 v24, a40
	v_mul_f64 v[4:5], v[4:5], s[0:1]
	v_add_u32_e32 v21, s5, v21
	v_accvgpr_read_b32 v26, a42
	v_accvgpr_read_b32 v27, a43
	global_store_dwordx4 v[20:21], v[4:7], off
	ds_read_b128 v[4:7], v48 offset:9072
	v_accvgpr_read_b32 v25, a41
	s_waitcnt lgkmcnt(1)
	v_mul_f64 v[16:17], v[26:27], v[2:3]
	v_fmac_f64_e32 v[16:17], v[24:25], v[0:1]
	v_mul_f64 v[0:1], v[26:27], v[0:1]
	v_fma_f64 v[0:1], v[24:25], v[2:3], -v[0:1]
	v_mad_u64_u32 v[20:21], s[2:3], s4, v22, v[20:21]
	v_mul_f64 v[16:17], v[16:17], s[0:1]
	v_mul_f64 v[18:19], v[0:1], s[0:1]
	v_add_u32_e32 v21, s6, v21
	global_store_dwordx4 v[20:21], v[16:19], off
	s_nop 1
	v_accvgpr_read_b32 v16, a44
	v_accvgpr_read_b32 v18, a46
	;; [unrolled: 1-line block ×4, first 2 shown]
	v_mul_f64 v[0:1], v[18:19], v[14:15]
	v_mul_f64 v[2:3], v[18:19], v[12:13]
	v_fmac_f64_e32 v[0:1], v[16:17], v[12:13]
	v_fma_f64 v[2:3], v[16:17], v[14:15], -v[2:3]
	v_mad_u64_u32 v[12:13], s[2:3], s4, v22, v[20:21]
	v_accvgpr_read_b32 v14, a48
	v_mul_f64 v[0:1], v[0:1], s[0:1]
	v_mul_f64 v[2:3], v[2:3], s[0:1]
	v_add_u32_e32 v13, s6, v13
	v_accvgpr_read_b32 v16, a50
	v_accvgpr_read_b32 v17, a51
	global_store_dwordx4 v[12:13], v[0:3], off
	v_accvgpr_read_b32 v15, a49
	s_nop 0
	v_mul_f64 v[0:1], v[16:17], v[10:11]
	v_mul_f64 v[2:3], v[16:17], v[8:9]
	v_fmac_f64_e32 v[0:1], v[14:15], v[8:9]
	v_fma_f64 v[2:3], v[14:15], v[10:11], -v[2:3]
	v_mad_u64_u32 v[8:9], s[2:3], s4, v23, v[12:13]
	v_accvgpr_read_b32 v10, a52
	v_mul_f64 v[0:1], v[0:1], s[0:1]
	v_mul_f64 v[2:3], v[2:3], s[0:1]
	v_add_u32_e32 v9, s5, v9
	v_accvgpr_read_b32 v12, a54
	v_accvgpr_read_b32 v13, a55
	global_store_dwordx4 v[8:9], v[0:3], off
	v_accvgpr_read_b32 v11, a53
	v_mad_u64_u32 v[8:9], s[2:3], s4, v22, v[8:9]
	s_waitcnt lgkmcnt(0)
	v_mul_f64 v[0:1], v[12:13], v[6:7]
	v_mul_f64 v[2:3], v[12:13], v[4:5]
	v_fmac_f64_e32 v[0:1], v[10:11], v[4:5]
	v_fma_f64 v[2:3], v[10:11], v[6:7], -v[2:3]
	ds_read_b128 v[4:7], v48 offset:14112
	v_accvgpr_read_b32 v10, a56
	v_mul_f64 v[0:1], v[0:1], s[0:1]
	v_mul_f64 v[2:3], v[2:3], s[0:1]
	v_add_u32_e32 v9, s6, v9
	v_accvgpr_read_b32 v12, a58
	v_accvgpr_read_b32 v13, a59
	global_store_dwordx4 v[8:9], v[0:3], off
	v_accvgpr_read_b32 v11, a57
	s_waitcnt lgkmcnt(0)
	v_mul_f64 v[0:1], v[12:13], v[6:7]
	v_mul_f64 v[2:3], v[12:13], v[4:5]
	v_fmac_f64_e32 v[0:1], v[10:11], v[4:5]
	v_fma_f64 v[2:3], v[10:11], v[6:7], -v[2:3]
	v_mul_f64 v[0:1], v[0:1], s[0:1]
	v_mul_f64 v[2:3], v[2:3], s[0:1]
	v_mad_u64_u32 v[4:5], s[0:1], s4, v22, v[8:9]
	v_add_u32_e32 v5, s6, v5
	global_store_dwordx4 v[4:5], v[0:3], off
.LBB0_10:
	s_endpgm
	.section	.rodata,"a",@progbits
	.p2align	6, 0x0
	.amdhsa_kernel bluestein_single_fwd_len945_dim1_dp_op_CI_CI
		.amdhsa_group_segment_fixed_size 15120
		.amdhsa_private_segment_fixed_size 0
		.amdhsa_kernarg_size 104
		.amdhsa_user_sgpr_count 2
		.amdhsa_user_sgpr_dispatch_ptr 0
		.amdhsa_user_sgpr_queue_ptr 0
		.amdhsa_user_sgpr_kernarg_segment_ptr 1
		.amdhsa_user_sgpr_dispatch_id 0
		.amdhsa_user_sgpr_kernarg_preload_length 0
		.amdhsa_user_sgpr_kernarg_preload_offset 0
		.amdhsa_user_sgpr_private_segment_size 0
		.amdhsa_uses_dynamic_stack 0
		.amdhsa_enable_private_segment 0
		.amdhsa_system_sgpr_workgroup_id_x 1
		.amdhsa_system_sgpr_workgroup_id_y 0
		.amdhsa_system_sgpr_workgroup_id_z 0
		.amdhsa_system_sgpr_workgroup_info 0
		.amdhsa_system_vgpr_workitem_id 0
		.amdhsa_next_free_vgpr 386
		.amdhsa_next_free_sgpr 28
		.amdhsa_accum_offset 256
		.amdhsa_reserve_vcc 1
		.amdhsa_float_round_mode_32 0
		.amdhsa_float_round_mode_16_64 0
		.amdhsa_float_denorm_mode_32 3
		.amdhsa_float_denorm_mode_16_64 3
		.amdhsa_dx10_clamp 1
		.amdhsa_ieee_mode 1
		.amdhsa_fp16_overflow 0
		.amdhsa_tg_split 0
		.amdhsa_exception_fp_ieee_invalid_op 0
		.amdhsa_exception_fp_denorm_src 0
		.amdhsa_exception_fp_ieee_div_zero 0
		.amdhsa_exception_fp_ieee_overflow 0
		.amdhsa_exception_fp_ieee_underflow 0
		.amdhsa_exception_fp_ieee_inexact 0
		.amdhsa_exception_int_div_zero 0
	.end_amdhsa_kernel
	.text
.Lfunc_end0:
	.size	bluestein_single_fwd_len945_dim1_dp_op_CI_CI, .Lfunc_end0-bluestein_single_fwd_len945_dim1_dp_op_CI_CI
                                        ; -- End function
	.section	.AMDGPU.csdata,"",@progbits
; Kernel info:
; codeLenInByte = 21928
; NumSgprs: 34
; NumVgprs: 256
; NumAgprs: 130
; TotalNumVgprs: 386
; ScratchSize: 0
; MemoryBound: 0
; FloatMode: 240
; IeeeMode: 1
; LDSByteSize: 15120 bytes/workgroup (compile time only)
; SGPRBlocks: 4
; VGPRBlocks: 48
; NumSGPRsForWavesPerEU: 34
; NumVGPRsForWavesPerEU: 386
; AccumOffset: 256
; Occupancy: 1
; WaveLimiterHint : 1
; COMPUTE_PGM_RSRC2:SCRATCH_EN: 0
; COMPUTE_PGM_RSRC2:USER_SGPR: 2
; COMPUTE_PGM_RSRC2:TRAP_HANDLER: 0
; COMPUTE_PGM_RSRC2:TGID_X_EN: 1
; COMPUTE_PGM_RSRC2:TGID_Y_EN: 0
; COMPUTE_PGM_RSRC2:TGID_Z_EN: 0
; COMPUTE_PGM_RSRC2:TIDIG_COMP_CNT: 0
; COMPUTE_PGM_RSRC3_GFX90A:ACCUM_OFFSET: 63
; COMPUTE_PGM_RSRC3_GFX90A:TG_SPLIT: 0
	.text
	.p2alignl 6, 3212836864
	.fill 256, 4, 3212836864
	.type	__hip_cuid_2396a650e2a414fb,@object ; @__hip_cuid_2396a650e2a414fb
	.section	.bss,"aw",@nobits
	.globl	__hip_cuid_2396a650e2a414fb
__hip_cuid_2396a650e2a414fb:
	.byte	0                               ; 0x0
	.size	__hip_cuid_2396a650e2a414fb, 1

	.ident	"AMD clang version 19.0.0git (https://github.com/RadeonOpenCompute/llvm-project roc-6.4.0 25133 c7fe45cf4b819c5991fe208aaa96edf142730f1d)"
	.section	".note.GNU-stack","",@progbits
	.addrsig
	.addrsig_sym __hip_cuid_2396a650e2a414fb
	.amdgpu_metadata
---
amdhsa.kernels:
  - .agpr_count:     130
    .args:
      - .actual_access:  read_only
        .address_space:  global
        .offset:         0
        .size:           8
        .value_kind:     global_buffer
      - .actual_access:  read_only
        .address_space:  global
        .offset:         8
        .size:           8
        .value_kind:     global_buffer
      - .actual_access:  read_only
        .address_space:  global
        .offset:         16
        .size:           8
        .value_kind:     global_buffer
      - .actual_access:  read_only
        .address_space:  global
        .offset:         24
        .size:           8
        .value_kind:     global_buffer
      - .actual_access:  read_only
        .address_space:  global
        .offset:         32
        .size:           8
        .value_kind:     global_buffer
      - .offset:         40
        .size:           8
        .value_kind:     by_value
      - .address_space:  global
        .offset:         48
        .size:           8
        .value_kind:     global_buffer
      - .address_space:  global
        .offset:         56
        .size:           8
        .value_kind:     global_buffer
      - .address_space:  global
        .offset:         64
        .size:           8
        .value_kind:     global_buffer
      - .address_space:  global
        .offset:         72
        .size:           8
        .value_kind:     global_buffer
      - .offset:         80
        .size:           4
        .value_kind:     by_value
      - .address_space:  global
        .offset:         88
        .size:           8
        .value_kind:     global_buffer
      - .address_space:  global
        .offset:         96
        .size:           8
        .value_kind:     global_buffer
    .group_segment_fixed_size: 15120
    .kernarg_segment_align: 8
    .kernarg_segment_size: 104
    .language:       OpenCL C
    .language_version:
      - 2
      - 0
    .max_flat_workgroup_size: 63
    .name:           bluestein_single_fwd_len945_dim1_dp_op_CI_CI
    .private_segment_fixed_size: 0
    .sgpr_count:     34
    .sgpr_spill_count: 0
    .symbol:         bluestein_single_fwd_len945_dim1_dp_op_CI_CI.kd
    .uniform_work_group_size: 1
    .uses_dynamic_stack: false
    .vgpr_count:     386
    .vgpr_spill_count: 0
    .wavefront_size: 64
amdhsa.target:   amdgcn-amd-amdhsa--gfx950
amdhsa.version:
  - 1
  - 2
...

	.end_amdgpu_metadata
